;; amdgpu-corpus repo=ROCm/rocFFT kind=compiled arch=gfx1030 opt=O3
	.text
	.amdgcn_target "amdgcn-amd-amdhsa--gfx1030"
	.amdhsa_code_object_version 6
	.protected	bluestein_single_back_len884_dim1_half_op_CI_CI ; -- Begin function bluestein_single_back_len884_dim1_half_op_CI_CI
	.globl	bluestein_single_back_len884_dim1_half_op_CI_CI
	.p2align	8
	.type	bluestein_single_back_len884_dim1_half_op_CI_CI,@function
bluestein_single_back_len884_dim1_half_op_CI_CI: ; @bluestein_single_back_len884_dim1_half_op_CI_CI
; %bb.0:
	s_load_dwordx4 s[12:15], s[4:5], 0x28
	v_mul_u32_u24_e32 v1, 0x3c4, v0
	v_lshrrev_b32_e32 v1, 16, v1
	v_mad_u64_u32 v[28:29], null, s6, 3, v[1:2]
	v_mov_b32_e32 v29, 0
                                        ; kill: def $vgpr2 killed $sgpr0 killed $exec
	s_mov_b32 s0, exec_lo
	s_waitcnt lgkmcnt(0)
	v_cmpx_gt_u64_e64 s[12:13], v[28:29]
	s_cbranch_execz .LBB0_18
; %bb.1:
	s_clause 0x1
	s_load_dwordx4 s[8:11], s[4:5], 0x18
	s_load_dwordx4 s[0:3], s[4:5], 0x0
	v_mul_lo_u16 v1, 0x44, v1
	v_mov_b32_e32 v13, 0xb770
	v_mov_b32_e32 v12, 0xbbf1
	;; [unrolled: 1-line block ×4, first 2 shown]
	v_sub_nc_u16 v14, v0, v1
	v_mov_b32_e32 v26, 0x3770
	v_mov_b32_e32 v27, 0x33a8
	;; [unrolled: 1-line block ×3, first 2 shown]
	s_load_dwordx2 s[4:5], s[4:5], 0x38
	v_and_b32_e32 v58, 0xffff, v14
	v_lshlrev_b32_e32 v7, 2, v58
	s_waitcnt lgkmcnt(0)
	s_load_dwordx4 s[16:19], s[8:9], 0x0
	v_add_co_u32 v63, s6, s0, v7
	v_add_co_ci_u32_e64 v64, null, s1, 0, s6
	global_load_dword v60, v7, s[0:1]
	s_waitcnt lgkmcnt(0)
	v_mad_u64_u32 v[0:1], null, s18, v28, 0
	v_mad_u64_u32 v[2:3], null, s16, v58, 0
	s_mul_i32 s6, s17, 0x110
	s_mul_hi_u32 s7, s16, 0x110
	s_mul_i32 s8, s16, 0x110
	s_add_i32 s7, s7, s6
	v_mad_u64_u32 v[4:5], null, s19, v28, v[1:2]
	v_mad_u64_u32 v[5:6], null, s17, v58, v[3:4]
	v_mov_b32_e32 v1, v4
	v_lshlrev_b64 v[0:1], 2, v[0:1]
	v_mov_b32_e32 v3, v5
	v_add_co_u32 v0, vcc_lo, s14, v0
	v_lshlrev_b64 v[2:3], 2, v[2:3]
	v_add_co_ci_u32_e32 v1, vcc_lo, s15, v1, vcc_lo
	v_add_co_u32 v0, vcc_lo, v0, v2
	v_add_co_ci_u32_e32 v1, vcc_lo, v1, v3, vcc_lo
	v_add_co_u32 v2, vcc_lo, v0, s8
	v_add_co_ci_u32_e32 v3, vcc_lo, s7, v1, vcc_lo
	s_clause 0x1
	global_load_dword v6, v[0:1], off
	global_load_dword v10, v[2:3], off
	v_add_co_u32 v0, vcc_lo, v2, s8
	v_add_co_ci_u32_e32 v1, vcc_lo, s7, v3, vcc_lo
	s_clause 0x1
	global_load_dword v61, v7, s[0:1] offset:272
	global_load_dword v59, v7, s[0:1] offset:544
	v_add_co_u32 v2, vcc_lo, v0, s8
	v_add_co_ci_u32_e32 v3, vcc_lo, s7, v1, vcc_lo
	s_clause 0x1
	global_load_dword v15, v[0:1], off
	global_load_dword v16, v[2:3], off
	v_add_co_u32 v4, vcc_lo, v2, s8
	v_add_co_ci_u32_e32 v5, vcc_lo, s7, v3, vcc_lo
	v_add_co_u32 v0, vcc_lo, v4, s8
	v_add_co_ci_u32_e32 v1, vcc_lo, s7, v5, vcc_lo
	s_clause 0x4
	global_load_dword v57, v7, s[0:1] offset:816
	global_load_dword v56, v7, s[0:1] offset:1088
	;; [unrolled: 1-line block ×5, first 2 shown]
	global_load_dword v4, v[4:5], off
	global_load_dword v5, v[0:1], off
	v_add_co_u32 v0, vcc_lo, v0, s8
	v_add_co_ci_u32_e32 v1, vcc_lo, s7, v1, vcc_lo
	v_add_co_u32 v29, vcc_lo, 0x800, v63
	v_add_co_ci_u32_e32 v30, vcc_lo, 0, v64, vcc_lo
	global_load_dword v17, v[0:1], off
	v_add_co_u32 v0, vcc_lo, v0, s8
	v_add_co_ci_u32_e32 v1, vcc_lo, s7, v1, vcc_lo
	s_clause 0x1
	global_load_dword v52, v[29:30], off offset:128
	global_load_dword v51, v[29:30], off offset:400
	v_add_co_u32 v2, vcc_lo, v0, s8
	v_add_co_ci_u32_e32 v3, vcc_lo, s7, v1, vcc_lo
	global_load_dword v18, v[0:1], off
	v_add_co_u32 v0, vcc_lo, v2, s8
	v_add_co_ci_u32_e32 v1, vcc_lo, s7, v3, vcc_lo
	global_load_dword v19, v[2:3], off
	;; [unrolled: 3-line block ×4, first 2 shown]
	v_add_co_u32 v2, vcc_lo, v0, s8
	v_add_co_ci_u32_e32 v3, vcc_lo, s7, v1, vcc_lo
	global_load_dword v49, v[29:30], off offset:672
	global_load_dword v0, v[0:1], off
	global_load_dword v1, v[2:3], off
	s_clause 0x1
	global_load_dword v48, v[29:30], off offset:944
	global_load_dword v47, v[29:30], off offset:1216
	v_mul_hi_u32 v2, 0xaaaaaaab, v28
	s_load_dwordx4 s[8:11], s[10:11], 0x0
	v_cmp_gt_u16_e32 vcc_lo, 17, v14
	v_lshrrev_b32_e32 v2, 1, v2
	v_lshl_add_u32 v2, v2, 1, v2
	v_sub_nc_u32_e32 v2, v28, v2
	v_mul_u32_u24_e32 v2, 0x374, v2
	v_lshlrev_b32_e32 v62, 2, v2
	v_add_nc_u32_e32 v50, v7, v62
	v_add_nc_u32_e32 v8, 0x400, v50
	;; [unrolled: 1-line block ×3, first 2 shown]
	s_waitcnt vmcnt(24)
	v_lshrrev_b32_e32 v2, 16, v6
	v_mul_f16_sdwa v3, v60, v6 dst_sel:DWORD dst_unused:UNUSED_PAD src0_sel:WORD_1 src1_sel:DWORD
	s_waitcnt vmcnt(23)
	v_lshrrev_b32_e32 v22, 16, v10
	v_mul_f16_sdwa v7, v60, v2 dst_sel:DWORD dst_unused:UNUSED_PAD src0_sel:WORD_1 src1_sel:DWORD
	v_fma_f16 v2, v60, v2, -v3
	s_waitcnt vmcnt(22)
	v_mul_f16_sdwa v23, v61, v10 dst_sel:DWORD dst_unused:UNUSED_PAD src0_sel:WORD_1 src1_sel:DWORD
	v_mul_f16_sdwa v3, v61, v22 dst_sel:DWORD dst_unused:UNUSED_PAD src0_sel:WORD_1 src1_sel:DWORD
	v_fmac_f16_e32 v7, v60, v6
	v_fma_f16 v22, v61, v22, -v23
	v_fmac_f16_e32 v3, v61, v10
	s_waitcnt vmcnt(20)
	v_lshrrev_b32_e32 v6, 16, v15
	v_mul_f16_sdwa v23, v59, v15 dst_sel:DWORD dst_unused:UNUSED_PAD src0_sel:WORD_1 src1_sel:DWORD
	v_pack_b32_f16 v2, v7, v2
	s_waitcnt vmcnt(19)
	v_lshrrev_b32_e32 v10, 16, v16
	v_pack_b32_f16 v3, v3, v22
	v_mul_f16_sdwa v7, v59, v6 dst_sel:DWORD dst_unused:UNUSED_PAD src0_sel:WORD_1 src1_sel:DWORD
	s_waitcnt vmcnt(18)
	v_mul_f16_sdwa v24, v57, v16 dst_sel:DWORD dst_unused:UNUSED_PAD src0_sel:WORD_1 src1_sel:DWORD
	v_fma_f16 v6, v59, v6, -v23
	ds_write2_b32 v50, v2, v3 offset1:68
	v_fmac_f16_e32 v7, v59, v15
	v_mul_f16_sdwa v15, v57, v10 dst_sel:DWORD dst_unused:UNUSED_PAD src0_sel:WORD_1 src1_sel:DWORD
	s_waitcnt vmcnt(13)
	v_lshrrev_b32_e32 v22, 16, v4
	v_fma_f16 v10, v57, v10, -v24
	v_mul_f16_sdwa v23, v56, v4 dst_sel:DWORD dst_unused:UNUSED_PAD src0_sel:WORD_1 src1_sel:DWORD
	v_pack_b32_f16 v2, v7, v6
	v_fmac_f16_e32 v15, v57, v16
	v_mul_f16_sdwa v3, v56, v22 dst_sel:DWORD dst_unused:UNUSED_PAD src0_sel:WORD_1 src1_sel:DWORD
	s_waitcnt vmcnt(12)
	v_lshrrev_b32_e32 v6, 16, v5
	v_mul_f16_sdwa v7, v55, v5 dst_sel:DWORD dst_unused:UNUSED_PAD src0_sel:WORD_1 src1_sel:DWORD
	v_fma_f16 v16, v56, v22, -v23
	v_pack_b32_f16 v10, v15, v10
	v_fmac_f16_e32 v3, v56, v4
	v_mul_f16_sdwa v4, v55, v6 dst_sel:DWORD dst_unused:UNUSED_PAD src0_sel:WORD_1 src1_sel:DWORD
	v_fma_f16 v6, v55, v6, -v7
	s_waitcnt vmcnt(11)
	v_lshrrev_b32_e32 v7, 16, v17
	v_mul_f16_sdwa v15, v54, v17 dst_sel:DWORD dst_unused:UNUSED_PAD src0_sel:WORD_1 src1_sel:DWORD
	ds_write2_b32 v50, v2, v10 offset0:136 offset1:204
	v_pack_b32_f16 v2, v3, v16
	v_fmac_f16_e32 v4, v55, v5
	v_mul_f16_sdwa v3, v54, v7 dst_sel:DWORD dst_unused:UNUSED_PAD src0_sel:WORD_1 src1_sel:DWORD
	s_waitcnt vmcnt(8)
	v_lshrrev_b32_e32 v5, 16, v18
	v_mul_f16_sdwa v10, v53, v18 dst_sel:DWORD dst_unused:UNUSED_PAD src0_sel:WORD_1 src1_sel:DWORD
	v_fma_f16 v7, v54, v7, -v15
	v_pack_b32_f16 v4, v4, v6
	v_fmac_f16_e32 v3, v54, v17
	v_mul_f16_sdwa v6, v53, v5 dst_sel:DWORD dst_unused:UNUSED_PAD src0_sel:WORD_1 src1_sel:DWORD
	v_fma_f16 v5, v53, v5, -v10
	s_waitcnt vmcnt(7)
	v_lshrrev_b32_e32 v10, 16, v19
	v_mul_f16_sdwa v15, v52, v19 dst_sel:DWORD dst_unused:UNUSED_PAD src0_sel:WORD_1 src1_sel:DWORD
	v_pack_b32_f16 v3, v3, v7
	v_fmac_f16_e32 v6, v53, v18
	s_waitcnt vmcnt(6)
	v_lshrrev_b32_e32 v7, 16, v20
	v_mul_f16_sdwa v16, v52, v10 dst_sel:DWORD dst_unused:UNUSED_PAD src0_sel:WORD_1 src1_sel:DWORD
	v_fma_f16 v10, v52, v10, -v15
	v_mul_f16_sdwa v15, v51, v20 dst_sel:DWORD dst_unused:UNUSED_PAD src0_sel:WORD_1 src1_sel:DWORD
	v_pack_b32_f16 v5, v6, v5
	v_mul_f16_sdwa v6, v51, v7 dst_sel:DWORD dst_unused:UNUSED_PAD src0_sel:WORD_1 src1_sel:DWORD
	s_waitcnt vmcnt(5)
	v_lshrrev_b32_e32 v17, 16, v21
	s_waitcnt vmcnt(3)
	v_lshrrev_b32_e32 v18, 16, v0
	v_fma_f16 v7, v51, v7, -v15
	v_mul_f16_sdwa v15, v49, v21 dst_sel:DWORD dst_unused:UNUSED_PAD src0_sel:WORD_1 src1_sel:DWORD
	v_fmac_f16_e32 v6, v51, v20
	s_waitcnt vmcnt(2)
	v_lshrrev_b32_e32 v20, 16, v1
	v_fmac_f16_e32 v16, v52, v19
	v_mul_f16_sdwa v19, v49, v17 dst_sel:DWORD dst_unused:UNUSED_PAD src0_sel:WORD_1 src1_sel:DWORD
	v_fma_f16 v15, v49, v17, -v15
	s_waitcnt vmcnt(1)
	v_mul_f16_sdwa v17, v48, v0 dst_sel:DWORD dst_unused:UNUSED_PAD src0_sel:WORD_1 src1_sel:DWORD
	v_mul_f16_sdwa v22, v48, v18 dst_sel:DWORD dst_unused:UNUSED_PAD src0_sel:WORD_1 src1_sel:DWORD
	s_waitcnt vmcnt(0)
	v_mul_f16_sdwa v23, v47, v1 dst_sel:DWORD dst_unused:UNUSED_PAD src0_sel:WORD_1 src1_sel:DWORD
	v_mul_f16_sdwa v24, v47, v20 dst_sel:DWORD dst_unused:UNUSED_PAD src0_sel:WORD_1 src1_sel:DWORD
	v_fmac_f16_e32 v19, v49, v21
	v_fma_f16 v17, v48, v18, -v17
	v_fmac_f16_e32 v22, v48, v0
	v_fma_f16 v0, v47, v20, -v23
	v_fmac_f16_e32 v24, v47, v1
	v_pack_b32_f16 v1, v16, v10
	v_pack_b32_f16 v6, v6, v7
	;; [unrolled: 1-line block ×5, first 2 shown]
	ds_write2_b32 v8, v2, v4 offset0:16 offset1:84
	ds_write2_b32 v8, v3, v5 offset0:152 offset1:220
	;; [unrolled: 1-line block ×4, first 2 shown]
	ds_write_b32 v50, v0 offset:3264
	s_waitcnt lgkmcnt(0)
	s_barrier
	buffer_gl0_inv
	ds_read2_b32 v[2:3], v50 offset1:68
	ds_read_b32 v10, v50 offset:3264
	ds_read2_b32 v[4:5], v8 offset0:16 offset1:84
	ds_read2_b32 v[0:1], v9 offset0:32 offset1:100
	;; [unrolled: 1-line block ×4, first 2 shown]
	v_mul_lo_u16 v22, v14, 13
	ds_read2_b32 v[18:19], v8 offset0:152 offset1:220
	v_mov_b32_e32 v15, 0xb94e
	v_mov_b32_e32 v20, 0x394e
	;; [unrolled: 1-line block ×3, first 2 shown]
	v_and_b32_e32 v22, 0xffff, v22
	v_mov_b32_e32 v23, 0xba95
	v_mov_b32_e32 v24, 0xb3a8
	s_waitcnt lgkmcnt(0)
	s_barrier
	v_lshl_add_u32 v65, v22, 2, v62
	buffer_gl0_inv
                                        ; kill: def $vgpr14 killed $sgpr0 killed $exec
	v_pk_add_f16 v22, v2, v3
	v_pk_add_f16 v32, v3, v10 neg_lo:[0,1] neg_hi:[0,1]
	v_pk_add_f16 v3, v10, v3
	v_pk_add_f16 v33, v1, v4
	;; [unrolled: 1-line block ×3, first 2 shown]
	v_pk_add_f16 v38, v16, v7 neg_lo:[0,1] neg_hi:[0,1]
	v_pk_add_f16 v16, v22, v16
	v_pk_add_f16 v34, v4, v1 neg_lo:[0,1] neg_hi:[0,1]
	v_pk_add_f16 v35, v0, v5
	;; [unrolled: 2-line block ×3, first 2 shown]
	v_pk_add_f16 v40, v17, v6 neg_lo:[0,1] neg_hi:[0,1]
	v_mul_f16_sdwa v13, v32, v13 dst_sel:DWORD dst_unused:UNUSED_PAD src0_sel:WORD_1 src1_sel:DWORD
	v_pk_mul_f16 v22, 0x3b15388b, v3
	v_pk_add_f16 v16, v16, v17
	v_lshrrev_b32_e32 v43, 16, v3
	v_mul_f16_e32 v44, 0xba95, v32
	v_mul_f16_sdwa v45, v32, v12 dst_sel:DWORD dst_unused:UNUSED_PAD src0_sel:WORD_1 src1_sel:DWORD
	v_mul_f16_e32 v46, 0xbbf1, v32
	v_mul_f16_sdwa v66, v32, v11 dst_sel:DWORD dst_unused:UNUSED_PAD src0_sel:WORD_1 src1_sel:DWORD
	;; [unrolled: 2-line block ×3, first 2 shown]
	v_mul_f16_e32 v69, 0xb94e, v32
	v_pk_mul_f16 v70, 0xbbc4, v3 op_sel_hi:[0,1]
	v_lshrrev_b32_e32 v71, 16, v37
	v_mul_f16_e32 v72, 0xbb7b, v38
	v_mul_f16_e32 v73, 0xb3a8, v38
	v_mul_f16_e32 v74, 0x394e, v38
	v_mul_f16_e32 v75, 0x3bf1, v38
	v_lshrrev_b32_e32 v76, 16, v39
	v_mul_f16_e32 v77, 0xb3a8, v40
	v_mul_f16_e32 v78, 0x3b7b, v40
	v_mul_f16_e32 v79, 0x3770, v40
	v_mul_f16_e32 v80, 0xba95, v40
	;; [unrolled: 5-line block ×4, first 2 shown]
	v_mul_f16_sdwa v20, v38, v20 dst_sel:DWORD dst_unused:UNUSED_PAD src0_sel:WORD_1 src1_sel:DWORD
	v_mul_f16_sdwa v21, v38, v21 dst_sel:DWORD dst_unused:UNUSED_PAD src0_sel:WORD_1 src1_sel:DWORD
	;; [unrolled: 1-line block ×4, first 2 shown]
	v_pk_mul_f16 v93, 0x388bb5ac, v37
	v_fma_f16 v17, v3, 0x3b15, -v13
	v_pk_fma_f16 v112, 0xba95b770, v32, v22 op_sel:[0,0,1] op_sel_hi:[1,1,0] neg_lo:[0,1,0] neg_hi:[0,1,0]
	v_pk_fma_f16 v22, 0xba95b770, v32, v22 op_sel:[0,0,1] op_sel_hi:[1,1,0]
	v_pk_add_f16 v4, v16, v4
	v_pk_mul_f16 v94, 0x3b15, v37 op_sel_hi:[0,1]
	v_mul_f16_sdwa v25, v40, v25 dst_sel:DWORD dst_unused:UNUSED_PAD src0_sel:WORD_1 src1_sel:DWORD
	v_mul_f16_sdwa v95, v40, v12 dst_sel:DWORD dst_unused:UNUSED_PAD src0_sel:WORD_1 src1_sel:DWORD
	;; [unrolled: 1-line block ×4, first 2 shown]
	v_pk_mul_f16 v98, 0x2fb7bbc4, v39
	v_fmac_f16_e32 v13, 0x3b15, v3
	v_fmamk_f16 v113, v43, 0x388b, v44
	v_fma_f16 v44, v43, 0x388b, -v44
	v_fma_f16 v114, v3, 0x2fb7, -v45
	v_fmamk_f16 v115, v43, 0x2fb7, v46
	v_fmac_f16_e32 v45, 0x2fb7, v3
	v_fma_f16 v46, v43, 0x2fb7, -v46
	v_fma_f16 v116, v3, 0xb5ac, -v66
	v_fmamk_f16 v117, v43, 0xb5ac, v67
	v_fmac_f16_e32 v66, 0xb5ac, v3
	v_fma_f16 v67, v43, 0xb5ac, -v67
	v_fma_f16 v118, v3, 0xb9fd, -v68
	v_fmac_f16_e32 v68, 0xb9fd, v3
	v_fmamk_f16 v3, v43, 0xb9fd, v69
	v_fma_f16 v43, v43, 0xb9fd, -v69
	v_pk_fma_f16 v69, 0xb3a8, v32, v70 op_sel:[0,0,1] op_sel_hi:[0,1,0] neg_lo:[0,1,0] neg_hi:[0,1,0]
	v_pk_fma_f16 v32, 0xb3a8, v32, v70 op_sel:[0,0,1] op_sel_hi:[0,1,0]
	v_fmamk_f16 v70, v71, 0xb5ac, v72
	v_fma_f16 v72, v71, 0xb5ac, -v72
	v_fmamk_f16 v119, v71, 0xbbc4, v73
	v_fma_f16 v73, v71, 0xbbc4, -v73
	;; [unrolled: 2-line block ×16, first 2 shown]
	v_fma_f16 v90, v37, 0x388b, -v91
	v_fmac_f16_e32 v91, 0x388b, v37
	v_fma_f16 v131, v37, 0xbbc4, -v92
	v_fmac_f16_e32 v92, 0xbbc4, v37
	;; [unrolled: 2-line block ×4, first 2 shown]
	v_pk_fma_f16 v37, 0xbb7bba95, v38, v93 op_sel:[0,0,1] op_sel_hi:[1,1,0] neg_lo:[0,1,0] neg_hi:[0,1,0]
	v_pk_fma_f16 v93, 0xbb7bba95, v38, v93 op_sel:[0,0,1] op_sel_hi:[1,1,0]
	v_add_f16_e32 v16, v2, v17
	v_bfi_b32 v17, 0xffff, v22, v112
	v_pk_add_f16 v4, v4, v5
	v_pk_mul_f16 v99, 0xb9fd, v39 op_sel_hi:[0,1]
	v_mul_f16_sdwa v100, v34, v11 dst_sel:DWORD dst_unused:UNUSED_PAD src0_sel:WORD_1 src1_sel:DWORD
	v_mul_f16_sdwa v101, v34, v26 dst_sel:DWORD dst_unused:UNUSED_PAD src0_sel:WORD_1 src1_sel:DWORD
	;; [unrolled: 1-line block ×4, first 2 shown]
	v_pk_mul_f16 v103, 0xb5acb9fd, v33
	v_pk_fma_f16 v134, 0x3770, v38, v94 op_sel:[0,0,1] op_sel_hi:[0,1,0] neg_lo:[0,1,0] neg_hi:[0,1,0]
	v_pk_fma_f16 v38, 0x3770, v38, v94 op_sel:[0,0,1] op_sel_hi:[0,1,0]
	v_fma_f16 v94, v39, 0x2fb7, -v95
	v_fmac_f16_e32 v95, 0x2fb7, v39
	v_fma_f16 v135, v39, 0xb5ac, -v25
	v_fmac_f16_e32 v25, 0xb5ac, v39
	;; [unrolled: 2-line block ×4, first 2 shown]
	v_pk_fma_f16 v39, 0xb3a8bbf1, v40, v98 op_sel:[0,0,1] op_sel_hi:[1,1,0] neg_lo:[0,1,0] neg_hi:[0,1,0]
	v_pk_fma_f16 v98, 0xb3a8bbf1, v40, v98 op_sel:[0,0,1] op_sel_hi:[1,1,0]
	v_add_f16_e32 v13, v2, v13
	v_add_f16_sdwa v113, v2, v113 dst_sel:DWORD dst_unused:UNUSED_PAD src0_sel:WORD_1 src1_sel:DWORD
	v_pk_add_f16 v22, v2, v22 op_sel:[1,0] op_sel_hi:[0,1]
	v_add_f16_sdwa v44, v2, v44 dst_sel:DWORD dst_unused:UNUSED_PAD src0_sel:WORD_1 src1_sel:DWORD
	v_add_f16_e32 v114, v2, v114
	v_add_f16_sdwa v115, v2, v115 dst_sel:DWORD dst_unused:UNUSED_PAD src0_sel:WORD_1 src1_sel:DWORD
	v_add_f16_e32 v45, v2, v45
	;; [unrolled: 2-line block ×6, first 2 shown]
	v_add_f16_sdwa v43, v2, v43 dst_sel:DWORD dst_unused:UNUSED_PAD src0_sel:WORD_1 src1_sel:DWORD
	v_add_f16_sdwa v112, v2, v112 dst_sel:DWORD dst_unused:UNUSED_PAD src0_sel:WORD_1 src1_sel:DWORD
	v_pk_add_f16 v69, v2, v69 op_sel:[1,0] op_sel_hi:[0,1]
	v_pk_add_f16 v32, v2, v32 op_sel:[1,0] op_sel_hi:[0,1]
	v_bfi_b32 v156, 0xffff, v93, v37
	v_pk_add_f16 v2, v2, v17 op_sel:[1,0] op_sel_hi:[0,1]
	v_pk_add_f16 v4, v4, v18
	v_pk_add_f16 v41, v19, v18
	v_pk_mul_f16 v105, 0xb9fd2fb7, v35
	v_pk_mul_f16 v111, 0x388b, v33 op_sel_hi:[0,1]
	v_pk_fma_f16 v138, 0xb94e, v40, v99 op_sel:[0,0,1] op_sel_hi:[0,1,0] neg_lo:[0,1,0] neg_hi:[0,1,0]
	v_pk_fma_f16 v40, 0xb94e, v40, v99 op_sel:[0,0,1] op_sel_hi:[0,1,0]
	v_fma_f16 v99, v33, 0xb5ac, -v100
	v_fmac_f16_e32 v100, 0xb5ac, v33
	v_fma_f16 v139, v33, 0x3b15, -v101
	v_fmac_f16_e32 v101, 0x3b15, v33
	v_fma_f16 v140, v33, 0x2fb7, -v12
	v_fmac_f16_e32 v12, 0x2fb7, v33
	v_fma_f16 v141, v33, 0xbbc4, -v102
	v_fmac_f16_e32 v102, 0xbbc4, v33
	v_pk_fma_f16 v33, 0x394ebb7b, v34, v103 op_sel:[0,0,1] op_sel_hi:[1,1,0]
	v_pk_fma_f16 v103, 0x394ebb7b, v34, v103 op_sel:[0,0,1] op_sel_hi:[1,1,0] neg_lo:[0,1,0] neg_hi:[0,1,0]
	v_bfi_b32 v157, 0xffff, v98, v39
	v_add_f16_e32 v5, v90, v16
	v_add_f16_e32 v13, v91, v13
	;; [unrolled: 1-line block ×3, first 2 shown]
	v_pk_add_f16 v2, v156, v2
	v_pk_add_f16 v4, v4, v19
	v_pk_add_f16 v42, v18, v19 neg_lo:[0,1] neg_hi:[0,1]
	v_mul_f16_sdwa v104, v36, v15 dst_sel:DWORD dst_unused:UNUSED_PAD src0_sel:WORD_1 src1_sel:DWORD
	v_pk_mul_f16 v106, 0xbbc43b15, v41
	v_pk_fma_f16 v146, 0x3bf1b94e, v36, v105 op_sel:[0,0,1] op_sel_hi:[1,1,0] neg_lo:[0,1,0] neg_hi:[0,1,0]
	v_pk_fma_f16 v105, 0x3bf1b94e, v36, v105 op_sel:[0,0,1] op_sel_hi:[1,1,0]
	v_bfi_b32 v158, 0xffff, v33, v103
	v_add_f16_e32 v17, v72, v44
	v_add_f16_e32 v44, v131, v114
	;; [unrolled: 1-line block ×8, first 2 shown]
	v_pk_add_f16 v22, v93, v22
	v_add_f16_e32 v37, v37, v112
	v_add_f16_e32 v5, v94, v5
	;; [unrolled: 1-line block ×4, first 2 shown]
	v_pk_add_f16 v2, v157, v2
	v_pk_add_f16 v0, v4, v0
	v_mul_f16_sdwa v23, v36, v23 dst_sel:DWORD dst_unused:UNUSED_PAD src0_sel:WORD_1 src1_sel:DWORD
	v_mul_f16_sdwa v27, v36, v27 dst_sel:DWORD dst_unused:UNUSED_PAD src0_sel:WORD_1 src1_sel:DWORD
	;; [unrolled: 1-line block ×4, first 2 shown]
	v_lshrrev_b32_e32 v107, 16, v41
	v_mul_f16_e32 v108, 0x3770, v42
	v_mul_f16_e32 v109, 0x3a95, v42
	;; [unrolled: 1-line block ×3, first 2 shown]
	v_fma_f16 v142, v35, 0xb9fd, -v104
	v_fmac_f16_e32 v104, 0xb9fd, v35
	v_pk_fma_f16 v148, 0x3770b3a8, v42, v106 op_sel:[0,0,1] op_sel_hi:[1,1,0] neg_lo:[0,1,0] neg_hi:[0,1,0]
	v_pk_fma_f16 v149, 0x3770b3a8, v42, v106 op_sel:[0,0,1] op_sel_hi:[1,1,0]
	v_bfi_b32 v159, 0xffff, v105, v146
	v_pk_add_f16 v32, v38, v32
	v_add_f16_e32 v17, v77, v17
	v_add_f16_e32 v18, v135, v44
	;; [unrolled: 1-line block ×8, first 2 shown]
	v_pk_add_f16 v22, v98, v22
	v_add_f16_e32 v37, v39, v37
	v_add_f16_e32 v5, v99, v5
	;; [unrolled: 1-line block ×4, first 2 shown]
	v_pk_add_f16 v2, v158, v2
	v_pk_add_f16 v0, v0, v1
	v_mul_f16_sdwa v15, v42, v15 dst_sel:DWORD dst_unused:UNUSED_PAD src0_sel:WORD_1 src1_sel:DWORD
	v_mul_f16_sdwa v31, v42, v31 dst_sel:DWORD dst_unused:UNUSED_PAD src0_sel:WORD_1 src1_sel:DWORD
	;; [unrolled: 1-line block ×3, first 2 shown]
	v_fma_f16 v143, v35, 0x388b, -v23
	v_fmac_f16_e32 v23, 0x388b, v35
	v_fma_f16 v144, v35, 0xbbc4, -v27
	v_fma_f16 v145, v35, 0x3b15, -v26
	v_fmac_f16_e32 v26, 0x3b15, v35
	v_fma_f16 v147, v41, 0xbbc4, -v24
	v_fmamk_f16 v150, v107, 0x3b15, v108
	v_fma_f16 v108, v107, 0x3b15, -v108
	v_fmamk_f16 v152, v107, 0x388b, v109
	;; [unrolled: 2-line block ×3, first 2 shown]
	v_fma_f16 v110, v107, 0xb5ac, -v110
	v_mul_f16_e32 v107, 0xb9fd, v107
	v_bfi_b32 v149, 0xffff, v149, v148
	v_add_f16_e32 v17, v82, v17
	v_add_f16_e32 v18, v139, v18
	v_add_f16_e32 v19, v125, v38
	v_add_f16_e32 v25, v101, v25
	v_add_f16_e32 v38, v83, v44
	v_add_f16_e32 v39, v140, v45
	v_add_f16_e32 v44, v126, v46
	v_add_f16_e32 v21, v102, v21
	v_pk_add_f16 v22, v33, v22
	v_add_f16_e32 v33, v103, v37
	v_add_f16_e32 v4, v142, v5
	;; [unrolled: 1-line block ×4, first 2 shown]
	v_pk_add_f16 v1, v159, v2
	v_pk_add_f16 v0, v0, v6
	v_fma_f16 v151, v41, 0xb9fd, -v15
	v_fmac_f16_e32 v15, 0xb9fd, v41
	v_fma_f16 v154, v41, 0x388b, -v31
	v_fma_f16 v155, v41, 0xb5ac, -v11
	v_fmac_f16_e32 v11, 0xb5ac, v41
	v_fmac_f16_e32 v24, 0xbbc4, v41
	v_fmamk_f16 v160, v42, 0xb94e, v107
	v_add_f16_e32 v20, v20, v66
	v_add_f16_e32 v66, v74, v67
	;; [unrolled: 1-line block ×14, first 2 shown]
	v_pk_add_f16 v1, v149, v1
	v_pk_add_f16 v0, v0, v7
	v_pk_add_f16 v68, v134, v69
	v_add_f16_e32 v43, v71, v43
	v_add_f16_e32 v20, v96, v20
	;; [unrolled: 1-line block ×13, first 2 shown]
	v_alignbit_b32 v4, v4, v1, 16
	v_pack_b32_f16 v1, v2, v1
	v_pk_add_f16 v2, v0, v10
	v_add_f16_e32 v0, v24, v5
	v_pk_add_f16 v21, v40, v32
	v_pk_fma_f16 v24, 0x3a95, v34, v111 op_sel:[0,0,1] op_sel_hi:[0,1,0]
	v_mul_f16_e32 v25, 0xb94e, v42
	v_pk_mul_f16 v26, 0xb5ac, v35 op_sel_hi:[0,1]
	v_pk_add_f16 v5, v138, v68
	v_pk_fma_f16 v23, 0x3a95, v34, v111 op_sel:[0,0,1] op_sel_hi:[0,1,0] neg_lo:[0,1,0] neg_hi:[0,1,0]
	v_add_f16_e32 v43, v76, v43
	v_fmac_f16_e32 v27, 0xbbc4, v35
	v_add_f16_e32 v12, v12, v20
	v_add_f16_e32 v20, v84, v66
	;; [unrolled: 1-line block ×4, first 2 shown]
	v_pk_mul_f16 v10, 0x3770b3a8, v42
	v_pk_add_f16 v21, v24, v21
	v_pk_fma_f16 v24, 0xbb7b, v36, v26 op_sel:[0,0,1] op_sel_hi:[0,1,0]
	v_pack_b32_f16 v18, v18, v19
	v_bfi_b32 v19, 0xffff, v25, v22
	v_pk_add_f16 v5, v23, v5
	v_pk_fma_f16 v23, 0xbb7b, v36, v26 op_sel:[0,0,1] op_sel_hi:[0,1,0] neg_lo:[0,1,0] neg_hi:[0,1,0]
	v_pk_mul_f16 v26, 0x2fb7, v41 op_sel_hi:[0,1]
	v_add_f16_e32 v43, v81, v43
	v_add_f16_e32 v12, v27, v12
	;; [unrolled: 1-line block ×5, first 2 shown]
	v_pk_add_f16 v21, v24, v21
	v_pack_b32_f16 v24, v88, v106
	v_bfi_b32 v10, 0xffff, v38, v10
	v_pk_add_f16 v19, v107, v19 neg_lo:[0,1] neg_hi:[0,1]
	v_pk_add_f16 v22, v105, v22
	v_pk_add_f16 v5, v23, v5
	v_pk_fma_f16 v23, 0x3bf1, v42, v26 op_sel:[0,0,1] op_sel_hi:[0,1,0] neg_lo:[0,1,0] neg_hi:[0,1,0]
	v_pk_fma_f16 v25, 0x3bf1, v42, v26 op_sel:[0,0,1] op_sel_hi:[0,1,0]
	v_fmac_f16_e32 v31, 0x388b, v41
	v_add_f16_e32 v37, v86, v43
	v_add_f16_e32 v6, v109, v20
	;; [unrolled: 1-line block ×4, first 2 shown]
	v_pack_b32_f16 v16, v16, v17
	v_pk_add_f16 v10, v24, v10
	v_bfi_b32 v17, 0xffff, v19, v22
	v_pk_add_f16 v5, v23, v5
	v_pk_add_f16 v19, v25, v21
	v_add_f16_e32 v12, v31, v12
	v_add_f16_e32 v11, v110, v37
	ds_write2_b32 v65, v1, v4 offset0:1 offset1:2
	ds_write2_b32 v65, v16, v18 offset0:3 offset1:4
	v_pack_b32_f16 v1, v20, v3
	v_pk_add_f16 v3, v17, v10
	v_alignbit_b32 v4, v5, v19, 16
	v_alignbit_b32 v5, v19, v5, 16
	v_pack_b32_f16 v6, v12, v6
	v_pack_b32_f16 v7, v7, v11
	v_alignbit_b32 v10, v13, v3, 16
	v_pack_b32_f16 v3, v15, v3
	v_pack_b32_f16 v11, v0, v33
	ds_write2_b32 v65, v2, v1 offset1:5
	ds_write2_b32 v65, v5, v4 offset0:6 offset1:7
	ds_write2_b32 v65, v7, v6 offset0:8 offset1:9
	ds_write2_b32 v65, v3, v10 offset0:10 offset1:11
	ds_write_b32 v65, v11 offset:48
	v_add_nc_u32_e32 v1, 0xa00, v50
	s_waitcnt lgkmcnt(0)
	s_barrier
	buffer_gl0_inv
	ds_read2_b32 v[2:3], v50 offset1:68
	ds_read2_b32 v[4:5], v50 offset0:136 offset1:221
	ds_read2_b32 v[12:13], v8 offset0:186 offset1:254
	;; [unrolled: 1-line block ×5, first 2 shown]
                                        ; implicit-def: $vgpr15
                                        ; implicit-def: $vgpr31
                                        ; implicit-def: $vgpr32
                                        ; implicit-def: $vgpr34
	s_and_saveexec_b32 s0, vcc_lo
	s_cbranch_execz .LBB0_3
; %bb.2:
	v_add_nc_u32_e32 v0, 0x300, v50
	ds_read2_b32 v[14:15], v1 offset0:6 offset1:227
	ds_read2_b32 v[0:1], v0 offset0:12 offset1:233
	s_waitcnt lgkmcnt(1)
	v_lshrrev_b32_e32 v32, 16, v14
	s_waitcnt lgkmcnt(0)
	v_lshrrev_b32_e32 v33, 16, v0
	v_lshrrev_b32_e32 v34, 16, v1
	;; [unrolled: 1-line block ×3, first 2 shown]
.LBB0_3:
	s_or_b32 exec_lo, exec_lo, s0
	v_and_b32_e32 v16, 0xff, v58
	v_add_nc_u16 v18, v58, 0x44
	v_add_nc_u16 v19, v58, 0x88
	;; [unrolled: 1-line block ×3, first 2 shown]
	v_mov_b32_e32 v22, 0x4ec5
	v_mul_lo_u16 v16, 0x4f, v16
	v_mov_b32_e32 v45, 52
	v_and_b32_e32 v17, 0xff, v19
	s_waitcnt lgkmcnt(4)
	v_lshrrev_b32_e32 v42, 16, v5
	v_mul_u32_u24_sdwa v22, v20, v22 dst_sel:DWORD dst_unused:UNUSED_PAD src0_sel:WORD_0 src1_sel:DWORD
	v_lshrrev_b16 v35, 10, v16
	v_and_b32_e32 v16, 0xff, v18
	v_mul_lo_u16 v17, 0x4f, v17
	s_waitcnt lgkmcnt(3)
	v_lshrrev_b32_e32 v43, 16, v12
	v_lshrrev_b32_e32 v66, 18, v22
	v_mul_lo_u16 v21, v35, 13
	v_mul_lo_u16 v16, 0x4f, v16
	v_lshrrev_b16 v37, 10, v17
	v_mul_u32_u24_sdwa v35, v35, v45 dst_sel:DWORD dst_unused:UNUSED_PAD src0_sel:WORD_0 src1_sel:DWORD
	v_mul_lo_u16 v23, v66, 13
	v_sub_nc_u16 v21, v58, v21
	v_lshrrev_b16 v36, 10, v16
	v_mul_lo_u16 v22, v37, 13
	v_mul_u32_u24_sdwa v37, v37, v45 dst_sel:DWORD dst_unused:UNUSED_PAD src0_sel:WORD_0 src1_sel:DWORD
	v_sub_nc_u16 v67, v20, v23
	v_and_b32_e32 v38, 0xff, v21
	v_mul_lo_u16 v21, v36, 13
	v_sub_nc_u16 v19, v19, v22
	v_mul_u32_u24_sdwa v36, v36, v45 dst_sel:DWORD dst_unused:UNUSED_PAD src0_sel:WORD_0 src1_sel:DWORD
	v_mul_lo_u16 v20, v67, 12
	v_mad_u64_u32 v[16:17], null, v38, 12, s[2:3]
	v_sub_nc_u16 v18, v18, v21
	v_and_b32_e32 v40, 0xff, v19
	v_and_b32_e32 v41, 0xffff, v20
	s_waitcnt lgkmcnt(2)
	v_lshrrev_b32_e32 v44, 16, v7
	v_add_nc_u32_e32 v35, v35, v38
	v_and_b32_e32 v39, 0xff, v18
	global_load_dwordx3 v[25:27], v[16:17], off
	v_mad_u64_u32 v[18:19], null, v40, 12, s[2:3]
	v_add_nc_u32_e32 v37, v37, v40
	v_mad_u64_u32 v[16:17], null, v39, 12, s[2:3]
	v_add_nc_u32_e32 v36, v36, v39
	s_waitcnt lgkmcnt(1)
	v_lshrrev_b32_e32 v71, 16, v10
	v_lshrrev_b32_e32 v72, 16, v13
	s_waitcnt lgkmcnt(0)
	v_lshrrev_b32_e32 v73, 16, v8
	s_clause 0x1
	global_load_dwordx3 v[22:24], v[16:17], off
	global_load_dwordx3 v[19:21], v[18:19], off
	v_add_co_u32 v16, s0, s2, v41
	v_add_co_ci_u32_e64 v17, null, s3, 0, s0
	v_lshl_add_u32 v70, v35, 2, v62
	v_lshl_add_u32 v69, v36, 2, v62
	;; [unrolled: 1-line block ×3, first 2 shown]
	global_load_dwordx3 v[16:18], v[16:17], off
	v_lshrrev_b32_e32 v74, 16, v11
	v_lshrrev_b32_e32 v38, 16, v6
	;; [unrolled: 1-line block ×6, first 2 shown]
	s_waitcnt vmcnt(0)
	s_barrier
	buffer_gl0_inv
	v_mul_f16_sdwa v35, v42, v25 dst_sel:DWORD dst_unused:UNUSED_PAD src0_sel:DWORD src1_sel:WORD_1
	v_mul_f16_sdwa v36, v5, v25 dst_sel:DWORD dst_unused:UNUSED_PAD src0_sel:DWORD src1_sel:WORD_1
	v_mul_f16_sdwa v37, v43, v26 dst_sel:DWORD dst_unused:UNUSED_PAD src0_sel:DWORD src1_sel:WORD_1
	v_mul_f16_sdwa v40, v12, v26 dst_sel:DWORD dst_unused:UNUSED_PAD src0_sel:DWORD src1_sel:WORD_1
	v_mul_f16_sdwa v75, v44, v27 dst_sel:DWORD dst_unused:UNUSED_PAD src0_sel:DWORD src1_sel:WORD_1
	v_mul_f16_sdwa v76, v7, v27 dst_sel:DWORD dst_unused:UNUSED_PAD src0_sel:DWORD src1_sel:WORD_1
	v_fma_f16 v5, v5, v25, -v35
	v_fmac_f16_e32 v36, v42, v25
	v_fma_f16 v12, v12, v26, -v37
	v_fmac_f16_e32 v40, v43, v26
	;; [unrolled: 2-line block ×3, first 2 shown]
	v_mul_f16_sdwa v35, v71, v22 dst_sel:DWORD dst_unused:UNUSED_PAD src0_sel:DWORD src1_sel:WORD_1
	v_mul_f16_sdwa v37, v10, v22 dst_sel:DWORD dst_unused:UNUSED_PAD src0_sel:DWORD src1_sel:WORD_1
	;; [unrolled: 1-line block ×18, first 2 shown]
	v_fma_f16 v10, v10, v22, -v35
	v_fmac_f16_e32 v37, v71, v22
	v_fma_f16 v13, v13, v23, -v42
	v_fmac_f16_e32 v43, v72, v23
	;; [unrolled: 2-line block ×3, first 2 shown]
	v_fmac_f16_e32 v86, v32, v17
	v_sub_f16_e32 v12, v2, v12
	v_sub_f16_e32 v35, v41, v40
	;; [unrolled: 1-line block ×4, first 2 shown]
	v_fma_f16 v11, v11, v19, -v77
	v_fmac_f16_e32 v78, v74, v19
	v_fma_f16 v6, v6, v20, -v79
	v_fmac_f16_e32 v80, v38, v20
	;; [unrolled: 2-line block ×4, first 2 shown]
	v_fma_f16 v14, v14, v17, -v85
	v_fma_f16 v15, v15, v18, -v87
	v_fmac_f16_e32 v88, v31, v18
	v_fma_f16 v2, v2, 2.0, -v12
	v_fma_f16 v38, v41, 2.0, -v35
	;; [unrolled: 1-line block ×4, first 2 shown]
	v_sub_f16_e32 v32, v12, v32
	v_add_f16_e32 v71, v35, v7
	v_sub_f16_e32 v7, v3, v13
	v_sub_f16_e32 v13, v46, v43
	;; [unrolled: 1-line block ×14, first 2 shown]
	v_fma_f16 v34, v12, 2.0, -v32
	v_fma_f16 v3, v3, 2.0, -v7
	;; [unrolled: 1-line block ×5, first 2 shown]
	v_add_f16_e32 v73, v13, v8
	v_fma_f16 v4, v4, 2.0, -v6
	v_fma_f16 v8, v45, 2.0, -v39
	;; [unrolled: 1-line block ×4, first 2 shown]
	v_add_f16_e32 v100, v39, v9
	v_fma_f16 v0, v0, 2.0, -v14
	v_fma_f16 v9, v33, 2.0, -v43
	;; [unrolled: 1-line block ×5, first 2 shown]
	v_sub_f16_e32 v36, v7, v36
	v_sub_f16_e32 v35, v3, v10
	;; [unrolled: 1-line block ×5, first 2 shown]
	v_add_f16_e32 v99, v43, v15
	v_sub_f16_e32 v41, v4, v11
	v_sub_f16_e32 v102, v8, v37
	v_fma_f16 v33, v2, 2.0, -v31
	v_fma_f16 v74, v38, 2.0, -v72
	;; [unrolled: 1-line block ×3, first 2 shown]
	v_sub_f16_e32 v39, v0, v1
	v_sub_f16_e32 v101, v9, v45
	v_pack_b32_f16 v15, v32, v71
	v_fma_f16 v38, v7, 2.0, -v36
	v_fma_f16 v93, v13, 2.0, -v73
	v_pack_b32_f16 v2, v31, v72
	v_fma_f16 v37, v3, 2.0, -v35
	v_fma_f16 v94, v5, 2.0, -v92
	;; [unrolled: 1-line block ×7, first 2 shown]
	v_pack_b32_f16 v1, v34, v91
	v_fma_f16 v45, v0, 2.0, -v39
	v_fma_f16 v105, v9, 2.0, -v101
	v_pack_b32_f16 v0, v33, v74
	v_pack_b32_f16 v6, v36, v73
	;; [unrolled: 1-line block ×3, first 2 shown]
	ds_write2_b32 v70, v2, v15 offset0:26 offset1:39
	v_pack_b32_f16 v2, v38, v93
	v_pack_b32_f16 v5, v37, v94
	;; [unrolled: 1-line block ×6, first 2 shown]
	ds_write2_b32 v70, v0, v1 offset1:13
	ds_write2_b32 v69, v3, v6 offset0:26 offset1:39
	ds_write2_b32 v69, v5, v2 offset1:13
	ds_write2_b32 v68, v8, v4 offset1:13
	ds_write2_b32 v68, v9, v7 offset0:26 offset1:39
	s_and_saveexec_b32 s0, vcc_lo
	s_cbranch_execz .LBB0_5
; %bb.4:
	v_mad_u16 v0, v66, 52, v67
	v_perm_b32 v1, v105, v45, 0x5040100
	v_perm_b32 v2, v103, v46, 0x5040100
	;; [unrolled: 1-line block ×4, first 2 shown]
	v_and_b32_e32 v0, 0xffff, v0
	v_lshl_add_u32 v0, v0, 2, v62
	ds_write2_b32 v0, v1, v2 offset1:13
	ds_write2_b32 v0, v3, v4 offset0:26 offset1:39
.LBB0_5:
	s_or_b32 exec_lo, exec_lo, s0
	v_cmp_gt_u16_e64 s0, 52, v58
	s_waitcnt lgkmcnt(0)
	s_barrier
	buffer_gl0_inv
                                        ; implicit-def: $vgpr107
                                        ; implicit-def: $vgpr108
	s_and_saveexec_b32 s1, s0
	s_cbranch_execz .LBB0_7
; %bb.6:
	v_add_nc_u32_e32 v0, 0x200, v50
	v_add_nc_u32_e32 v1, 0x400, v50
	ds_read2_b32 v[33:34], v50 offset1:52
	ds_read2_b32 v[31:32], v50 offset0:104 offset1:156
	ds_read2_b32 v[37:38], v0 offset0:80 offset1:132
	v_add_nc_u32_e32 v0, 0x800, v50
	ds_read2_b32 v[35:36], v1 offset0:56 offset1:108
	ds_read2_b32 v[43:44], v1 offset0:160 offset1:212
	v_add_nc_u32_e32 v1, 0xa00, v50
	ds_read2_b32 v[41:42], v0 offset0:8 offset1:60
	ds_read2_b32 v[45:46], v0 offset0:112 offset1:164
	ds_read2_b32 v[39:40], v1 offset0:88 offset1:140
	ds_read_b32 v107, v50 offset:3328
	s_waitcnt lgkmcnt(8)
	v_lshrrev_b32_e32 v74, 16, v33
	v_lshrrev_b32_e32 v91, 16, v34
	s_waitcnt lgkmcnt(7)
	v_lshrrev_b32_e32 v72, 16, v31
	v_lshrrev_b32_e32 v71, 16, v32
	;; [unrolled: 3-line block ×8, first 2 shown]
	s_waitcnt lgkmcnt(0)
	v_lshrrev_b32_e32 v108, 16, v107
.LBB0_7:
	s_or_b32 exec_lo, exec_lo, s1
	v_lshlrev_b32_e32 v0, 4, v58
	v_add_co_u32 v2, s1, 0xfffffcc0, v0
	v_add_co_ci_u32_e64 v1, null, 0, -1, s1
	v_cndmask_b32_e64 v0, v2, v0, s0
	v_cndmask_b32_e64 v1, v1, 0, s0
	v_lshlrev_b64 v[0:1], 2, v[0:1]
	v_add_co_u32 v12, s1, s2, v0
	v_add_co_ci_u32_e64 v13, s1, s3, v1, s1
	s_clause 0x3
	global_load_dwordx4 v[8:11], v[12:13], off offset:156
	global_load_dwordx4 v[0:3], v[12:13], off offset:172
	;; [unrolled: 1-line block ×4, first 2 shown]
	s_waitcnt vmcnt(3)
	v_mul_f16_sdwa v95, v91, v8 dst_sel:DWORD dst_unused:UNUSED_PAD src0_sel:DWORD src1_sel:WORD_1
	v_mul_f16_sdwa v89, v34, v8 dst_sel:DWORD dst_unused:UNUSED_PAD src0_sel:DWORD src1_sel:WORD_1
	;; [unrolled: 1-line block ×3, first 2 shown]
	s_waitcnt vmcnt(0)
	v_mul_f16_sdwa v121, v108, v15 dst_sel:DWORD dst_unused:UNUSED_PAD src0_sel:DWORD src1_sel:WORD_1
	v_mul_f16_sdwa v77, v107, v15 dst_sel:DWORD dst_unused:UNUSED_PAD src0_sel:DWORD src1_sel:WORD_1
	;; [unrolled: 1-line block ×7, first 2 shown]
	v_fma_f16 v135, v34, v8, -v95
	v_fmac_f16_e32 v89, v91, v8
	v_fma_f16 v34, v107, v15, -v121
	v_fmac_f16_e32 v77, v108, v15
	v_mul_f16_sdwa v97, v71, v10 dst_sel:DWORD dst_unused:UNUSED_PAD src0_sel:DWORD src1_sel:WORD_1
	v_mul_f16_sdwa v88, v32, v10 dst_sel:DWORD dst_unused:UNUSED_PAD src0_sel:DWORD src1_sel:WORD_1
	;; [unrolled: 1-line block ×8, first 2 shown]
	v_fma_f16 v98, v31, v9, -v96
	v_fmac_f16_e32 v90, v72, v9
	v_fmac_f16_e32 v87, v94, v11
	v_fma_f16 v94, v35, v1, -v111
	v_fma_f16 v35, v40, v14, -v120
	v_fmac_f16_e32 v76, v99, v14
	v_sub_f16_e32 v107, v135, v34
	v_sub_f16_e32 v183, v89, v77
	v_mul_f16_sdwa v110, v93, v0 dst_sel:DWORD dst_unused:UNUSED_PAD src0_sel:DWORD src1_sel:WORD_1
	v_mul_f16_sdwa v84, v36, v2 dst_sel:DWORD dst_unused:UNUSED_PAD src0_sel:DWORD src1_sel:WORD_1
	v_mul_f16_sdwa v113, v106, v3 dst_sel:DWORD dst_unused:UNUSED_PAD src0_sel:DWORD src1_sel:WORD_1
	v_mul_f16_sdwa v115, v102, v5 dst_sel:DWORD dst_unused:UNUSED_PAD src0_sel:DWORD src1_sel:WORD_1
	v_mul_f16_sdwa v116, v100, v6 dst_sel:DWORD dst_unused:UNUSED_PAD src0_sel:DWORD src1_sel:WORD_1
	v_mul_f16_sdwa v118, v103, v12 dst_sel:DWORD dst_unused:UNUSED_PAD src0_sel:DWORD src1_sel:WORD_1
	v_mul_f16_sdwa v78, v46, v12 dst_sel:DWORD dst_unused:UNUSED_PAD src0_sel:DWORD src1_sel:WORD_1
	v_fma_f16 v97, v32, v10, -v97
	v_fmac_f16_e32 v88, v71, v10
	v_fmac_f16_e32 v86, v93, v0
	v_fma_f16 v93, v36, v2, -v112
	v_fma_f16 v36, v39, v13, -v119
	v_fmac_f16_e32 v75, v101, v13
	v_add_f16_e32 v179, v135, v34
	v_add_f16_e32 v39, v89, v77
	v_sub_f16_e32 v108, v98, v35
	v_sub_f16_e32 v112, v90, v76
	v_mul_f16_e32 v189, 0xb5c8, v183
	v_mul_f16_e32 v128, 0xb5c8, v107
	;; [unrolled: 1-line block ×8, first 2 shown]
	v_mul_f16_sdwa v83, v43, v3 dst_sel:DWORD dst_unused:UNUSED_PAD src0_sel:DWORD src1_sel:WORD_1
	v_mul_f16_sdwa v114, v104, v4 dst_sel:DWORD dst_unused:UNUSED_PAD src0_sel:DWORD src1_sel:WORD_1
	;; [unrolled: 1-line block ×6, first 2 shown]
	v_fma_f16 v96, v37, v11, -v109
	v_fmac_f16_e32 v85, v92, v1
	v_fma_f16 v92, v43, v3, -v113
	v_fma_f16 v43, v41, v5, -v115
	v_fma_f16 v41, v42, v6, -v116
	v_fma_f16 v37, v46, v12, -v118
	v_fmac_f16_e32 v78, v103, v12
	v_add_f16_e32 v40, v98, v35
	v_add_f16_e32 v42, v90, v76
	v_sub_f16_e32 v109, v97, v36
	v_sub_f16_e32 v115, v88, v75
	v_mul_f16_e32 v125, 0xb964, v112
	v_mul_f16_e32 v131, 0xb964, v108
	;; [unrolled: 1-line block ×8, first 2 shown]
	v_fmamk_f16 v31, v179, 0x3722, v191
	v_fmamk_f16 v32, v179, 0x2de8, v192
	;; [unrolled: 1-line block ×3, first 2 shown]
	v_fma_f16 v194, v39, 0x3b76, -v128
	v_fmamk_f16 v197, v179, 0x39e9, v190
	v_fma_f16 v200, v39, 0x39e9, -v145
	v_fma_f16 v203, v39, 0x3722, -v167
	v_fma_f16 v206, v39, 0x2de8, -v180
	v_mul_f16_sdwa v82, v44, v4 dst_sel:DWORD dst_unused:UNUSED_PAD src0_sel:DWORD src1_sel:WORD_1
	v_fma_f16 v95, v38, v0, -v110
	v_fma_f16 v91, v44, v4, -v114
	v_fmac_f16_e32 v80, v100, v6
	v_fma_f16 v38, v45, v7, -v117
	v_fmac_f16_e32 v79, v105, v7
	v_add_f16_e32 v99, v97, v36
	v_add_f16_e32 v100, v88, v75
	v_sub_f16_e32 v110, v96, v37
	v_sub_f16_e32 v117, v87, v78
	v_mul_f16_e32 v126, 0xbb29, v115
	v_mul_f16_e32 v129, 0xbb29, v109
	;; [unrolled: 1-line block ×8, first 2 shown]
	v_fmamk_f16 v44, v40, 0xb8d2, v159
	v_fmamk_f16 v45, v40, 0xbbdd, v178
	;; [unrolled: 1-line block ×3, first 2 shown]
	v_fma_f16 v208, v42, 0x39e9, -v131
	v_fmamk_f16 v209, v40, 0x2de8, v141
	v_fma_f16 v210, v42, 0x2de8, -v146
	v_fma_f16 v211, v42, 0xb8d2, -v168
	;; [unrolled: 1-line block ×3, first 2 shown]
	v_add_f16_e32 v31, v33, v31
	v_add_f16_e32 v32, v33, v32
	v_add_f16_e32 v72, v33, v72
	v_add_f16_e32 v194, v74, v194
	v_add_f16_e32 v197, v33, v197
	v_add_f16_e32 v200, v74, v200
	v_add_f16_e32 v203, v74, v203
	v_add_f16_e32 v206, v74, v206
	v_fmac_f16_e32 v81, v102, v5
	v_add_f16_e32 v101, v96, v37
	v_add_f16_e32 v102, v87, v78
	v_sub_f16_e32 v118, v86, v79
	v_sub_f16_e32 v160, v95, v38
	v_mul_f16_e32 v123, 0xbbf7, v117
	v_mul_f16_e32 v130, 0xbbf7, v110
	;; [unrolled: 1-line block ×8, first 2 shown]
	v_fmamk_f16 v46, v99, 0xbbdd, v158
	v_fmamk_f16 v71, v99, 0xb461, v177
	;; [unrolled: 1-line block ×3, first 2 shown]
	v_fma_f16 v214, v100, 0x3722, -v129
	v_fmamk_f16 v215, v99, 0xb8d2, v140
	v_fma_f16 v216, v100, 0xb8d2, -v147
	v_fma_f16 v217, v100, 0xbbdd, -v165
	;; [unrolled: 1-line block ×3, first 2 shown]
	v_add_f16_e32 v31, v44, v31
	v_add_f16_e32 v32, v45, v32
	;; [unrolled: 1-line block ×8, first 2 shown]
	v_fmac_f16_e32 v84, v73, v2
	v_add_f16_e32 v103, v95, v38
	v_sub_f16_e32 v132, v85, v80
	v_add_f16_e32 v111, v86, v79
	v_sub_f16_e32 v162, v94, v41
	v_mul_f16_e32 v156, 0x3964, v118
	v_mul_f16_e32 v170, 0xbb29, v118
	v_mul_f16_e32 v133, 0xbbb2, v118
	v_mul_f16_e32 v136, 0xbbb2, v160
	v_mul_f16_e32 v144, 0x3836, v118
	v_mul_f16_e32 v151, 0x3836, v160
	v_mul_f16_e32 v173, 0x3964, v160
	v_mul_f16_e32 v188, 0xbb29, v160
	v_fmamk_f16 v73, v101, 0xb461, v157
	v_fmamk_f16 v193, v101, 0x3b76, v175
	;; [unrolled: 1-line block ×3, first 2 shown]
	v_fma_f16 v220, v102, 0x2de8, -v130
	v_fmamk_f16 v221, v101, 0xbbdd, v139
	v_fma_f16 v222, v102, 0xbbdd, -v154
	v_fma_f16 v223, v102, 0xb461, -v174
	v_fma_f16 v224, v102, 0x3b76, -v187
	v_add_f16_e32 v31, v46, v31
	v_add_f16_e32 v32, v71, v32
	;; [unrolled: 1-line block ×8, first 2 shown]
	v_fmac_f16_e32 v83, v106, v3
	v_fmac_f16_e32 v82, v104, v4
	v_add_f16_e32 v104, v94, v41
	v_sub_f16_e32 v137, v84, v81
	v_add_f16_e32 v113, v85, v80
	v_sub_f16_e32 v166, v93, v43
	v_mul_f16_e32 v155, 0xb5c8, v132
	v_mul_f16_e32 v164, 0xb836, v132
	;; [unrolled: 1-line block ×8, first 2 shown]
	v_fmamk_f16 v195, v103, 0x39e9, v156
	v_fmamk_f16 v196, v103, 0x3722, v170
	;; [unrolled: 1-line block ×3, first 2 shown]
	v_fma_f16 v226, v111, 0xb461, -v136
	v_fmamk_f16 v227, v103, 0xbacd, v144
	v_fma_f16 v228, v111, 0xbacd, -v151
	v_fma_f16 v229, v111, 0x39e9, -v173
	;; [unrolled: 1-line block ×3, first 2 shown]
	v_add_f16_e32 v31, v73, v31
	v_add_f16_e32 v32, v193, v32
	;; [unrolled: 1-line block ×9, first 2 shown]
	v_sub_f16_e32 v138, v83, v82
	v_add_f16_e32 v114, v84, v81
	v_sub_f16_e32 v176, v92, v91
	v_mul_f16_e32 v153, 0xbbf7, v137
	v_mul_f16_e32 v163, 0x3a62, v137
	;; [unrolled: 1-line block ×8, first 2 shown]
	v_fmamk_f16 v198, v104, 0x3b76, v155
	v_fmamk_f16 v199, v104, 0xbacd, v164
	;; [unrolled: 1-line block ×3, first 2 shown]
	v_fma_f16 v232, v113, 0xb8d2, -v134
	v_fmamk_f16 v233, v104, 0xb461, v143
	v_fma_f16 v234, v113, 0xb461, -v152
	v_fma_f16 v235, v113, 0x3b76, -v171
	;; [unrolled: 1-line block ×3, first 2 shown]
	v_add_f16_e32 v31, v195, v31
	v_add_f16_e32 v32, v196, v32
	;; [unrolled: 1-line block ×10, first 2 shown]
	v_mul_f16_e32 v148, 0xb836, v138
	v_mul_f16_e32 v161, 0x3964, v138
	;; [unrolled: 1-line block ×8, first 2 shown]
	v_fmamk_f16 v201, v105, 0x2de8, v153
	v_fmamk_f16 v202, v105, 0xb8d2, v163
	;; [unrolled: 1-line block ×3, first 2 shown]
	v_fma_f16 v238, v114, 0xbacd, -v127
	v_fmamk_f16 v239, v105, 0x3722, v142
	v_fma_f16 v240, v114, 0x3722, -v149
	v_fma_f16 v241, v114, 0x2de8, -v169
	v_fma_f16 v242, v114, 0xb8d2, -v184
	v_add_f16_e32 v31, v198, v31
	v_add_f16_e32 v32, v199, v32
	;; [unrolled: 1-line block ×8, first 2 shown]
	v_fmamk_f16 v204, v106, 0xbacd, v148
	v_fmamk_f16 v205, v106, 0x39e9, v161
	;; [unrolled: 1-line block ×3, first 2 shown]
	v_fma_f16 v244, v116, 0xbbdd, -v122
	v_fmamk_f16 v245, v106, 0x3b76, v121
	v_fma_f16 v246, v116, 0x3b76, -v150
	v_fma_f16 v247, v116, 0xbacd, -v172
	;; [unrolled: 1-line block ×3, first 2 shown]
	v_add_f16_e32 v31, v201, v31
	v_add_f16_e32 v193, v202, v32
	;; [unrolled: 1-line block ×16, first 2 shown]
	s_and_saveexec_b32 s1, s0
	s_cbranch_execz .LBB0_9
; %bb.8:
	v_mul_f16_e32 v193, 0x2de8, v179
	v_mul_f16_e32 v194, 0xb836, v183
	;; [unrolled: 1-line block ×3, first 2 shown]
	v_add_f16_e32 v135, v33, v135
	v_mul_f16_e32 v200, 0xbacd, v42
	v_sub_f16_e32 v192, v193, v192
	v_mul_f16_e32 v193, 0x3722, v179
	v_fmamk_f16 v197, v179, 0xbacd, v194
	v_fma_f16 v194, v179, 0xbacd, -v194
	v_fmamk_f16 v199, v179, 0xb461, v195
	v_fma_f16 v195, v179, 0xb461, -v195
	v_sub_f16_e32 v191, v193, v191
	v_mul_f16_e32 v193, 0x39e9, v179
	v_add_f16_e32 v197, v33, v197
	v_add_f16_e32 v194, v33, v194
	;; [unrolled: 1-line block ×4, first 2 shown]
	v_sub_f16_e32 v190, v193, v190
	v_mul_f16_e32 v193, 0xb1e1, v183
	v_mul_f16_e32 v183, 0xba62, v183
	v_add_f16_e32 v191, v33, v191
	v_fmamk_f16 v201, v108, 0xb836, v200
	v_add_f16_e32 v190, v33, v190
	v_fmamk_f16 v196, v179, 0xbbdd, v193
	v_fma_f16 v193, v179, 0xbbdd, -v193
	v_fmamk_f16 v198, v179, 0xb8d2, v183
	v_fma_f16 v183, v179, 0xb8d2, -v183
	v_mul_f16_e32 v179, 0x3b76, v179
	v_add_f16_e32 v196, v33, v196
	v_add_f16_e32 v193, v33, v193
	;; [unrolled: 1-line block ×4, first 2 shown]
	v_sub_f16_e32 v179, v179, v189
	v_add_f16_e32 v189, v33, v199
	v_mul_f16_e32 v214, 0xb461, v42
	v_mul_f16_e32 v230, 0x3722, v42
	;; [unrolled: 1-line block ×3, first 2 shown]
	v_add_f16_e32 v33, v33, v179
	v_mul_f16_e32 v179, 0xb461, v39
	v_fmamk_f16 v215, v108, 0xbbb2, v214
	v_fmamk_f16 v231, v108, 0xbb29, v230
	;; [unrolled: 1-line block ×3, first 2 shown]
	v_fmac_f16_e32 v246, 0x35c8, v108
	v_fmamk_f16 v199, v107, 0x3bb2, v179
	v_fmac_f16_e32 v214, 0x3bb2, v108
	v_fmac_f16_e32 v179, 0xbbb2, v107
	;; [unrolled: 1-line block ×4, first 2 shown]
	v_add_f16_e32 v199, v74, v199
	v_add_f16_e32 v89, v74, v89
	;; [unrolled: 1-line block ×4, first 2 shown]
	v_mul_f16_e32 v201, 0x39e9, v100
	v_add_f16_e32 v89, v89, v90
	v_mul_f16_e32 v90, 0xbacd, v103
	v_add_f16_e32 v97, v98, v97
	v_fmamk_f16 v202, v109, 0xb964, v201
	v_fmac_f16_e32 v201, 0x3964, v109
	v_sub_f16_e32 v90, v90, v144
	v_add_f16_e32 v88, v89, v88
	v_add_f16_e32 v96, v97, v96
	;; [unrolled: 1-line block ×3, first 2 shown]
	v_mul_f16_e32 v202, 0x3722, v102
	v_add_f16_e32 v87, v88, v87
	v_mul_f16_e32 v88, 0x3b76, v116
	v_add_f16_e32 v95, v96, v95
	v_fmamk_f16 v203, v110, 0x3b29, v202
	v_fmac_f16_e32 v202, 0xbb29, v110
	v_add_f16_e32 v86, v87, v86
	v_add_f16_e32 v88, v150, v88
	;; [unrolled: 1-line block ×3, first 2 shown]
	v_mul_f16_e32 v203, 0xbbdd, v111
	v_add_f16_e32 v85, v86, v85
	v_fmamk_f16 v204, v160, 0x31e1, v203
	v_fmac_f16_e32 v203, 0xb1e1, v160
	v_add_f16_e32 v84, v85, v84
	v_add_f16_e32 v199, v204, v199
	v_mul_f16_e32 v204, 0x3836, v112
	v_fmamk_f16 v205, v40, 0xbacd, v204
	v_add_f16_e32 v189, v205, v189
	v_mul_f16_e32 v205, 0x2de8, v113
	v_fmamk_f16 v206, v162, 0xbbf7, v205
	v_fmac_f16_e32 v205, 0x3bf7, v162
	v_add_f16_e32 v199, v206, v199
	v_mul_f16_e32 v206, 0x3964, v115
	v_fmamk_f16 v207, v99, 0x39e9, v206
	v_add_f16_e32 v189, v207, v189
	v_mul_f16_e32 v207, 0x3b76, v114
	v_fmamk_f16 v208, v166, 0x35c8, v207
	v_fmac_f16_e32 v207, 0xb5c8, v166
	v_add_f16_e32 v199, v208, v199
	v_mul_f16_e32 v208, 0xbb29, v117
	v_fmamk_f16 v209, v101, 0x3722, v208
	v_add_f16_e32 v189, v209, v189
	v_mul_f16_e32 v209, 0xb1e1, v118
	v_fmamk_f16 v210, v103, 0xbbdd, v209
	;; [unrolled: 3-line block ×4, first 2 shown]
	v_fmac_f16_e32 v211, 0xba62, v176
	v_add_f16_e32 v199, v212, v199
	v_mul_f16_e32 v212, 0xb8d2, v39
	v_fmamk_f16 v213, v107, 0x3a62, v212
	v_fmac_f16_e32 v212, 0xba62, v107
	v_add_f16_e32 v213, v74, v213
	v_add_f16_e32 v213, v215, v213
	v_mul_f16_e32 v215, 0xb5c8, v137
	v_fmamk_f16 v216, v105, 0x3b76, v215
	v_add_f16_e32 v189, v216, v189
	v_mul_f16_e32 v216, 0x3b76, v100
	v_fmamk_f16 v217, v109, 0x35c8, v216
	v_fmac_f16_e32 v216, 0xb5c8, v109
	v_add_f16_e32 v213, v217, v213
	v_mul_f16_e32 v217, 0xbacd, v102
	v_fmamk_f16 v218, v110, 0x3836, v217
	v_fmac_f16_e32 v217, 0xb836, v110
	;; [unrolled: 4-line block ×3, first 2 shown]
	v_add_f16_e32 v213, v219, v213
	v_mul_f16_e32 v219, 0x3bb2, v112
	v_fmamk_f16 v220, v40, 0xb461, v219
	v_add_f16_e32 v198, v220, v198
	v_mul_f16_e32 v220, 0x39e9, v113
	v_fmamk_f16 v221, v162, 0x3964, v220
	v_fmac_f16_e32 v220, 0xb964, v162
	v_add_f16_e32 v213, v221, v213
	v_mul_f16_e32 v221, 0xba62, v138
	v_fmamk_f16 v222, v106, 0xb8d2, v221
	v_add_f16_e32 v189, v222, v189
	v_mul_f16_e32 v222, 0xb5c8, v115
	v_fmamk_f16 v223, v99, 0x3b76, v222
	;; [unrolled: 3-line block ×3, first 2 shown]
	v_fmac_f16_e32 v223, 0xb1e1, v166
	v_add_f16_e32 v213, v224, v213
	v_mul_f16_e32 v224, 0xb836, v117
	v_fmamk_f16 v225, v101, 0xbacd, v224
	v_add_f16_e32 v198, v225, v198
	v_mul_f16_e32 v225, 0x3bf7, v118
	v_fmamk_f16 v226, v103, 0x2de8, v225
	v_fma_f16 v108, v103, 0x2de8, -v225
	v_add_f16_e32 v198, v226, v198
	v_mul_f16_e32 v226, 0xb964, v132
	v_fmamk_f16 v227, v104, 0x39e9, v226
	v_add_f16_e32 v198, v227, v198
	v_mul_f16_e32 v227, 0x3722, v116
	v_fmamk_f16 v228, v176, 0xbb29, v227
	v_fmac_f16_e32 v227, 0x3b29, v176
	v_add_f16_e32 v213, v228, v213
	v_mul_f16_e32 v228, 0xbacd, v39
	v_fmamk_f16 v229, v107, 0x3836, v228
	v_fmac_f16_e32 v228, 0xb836, v107
	v_add_f16_e32 v229, v74, v229
	v_add_f16_e32 v229, v231, v229
	v_mul_f16_e32 v231, 0xb1e1, v137
	v_fmamk_f16 v232, v105, 0xbbdd, v231
	v_add_f16_e32 v198, v232, v198
	v_mul_f16_e32 v232, 0x2de8, v100
	v_fmamk_f16 v233, v109, 0x3bf7, v232
	v_fmac_f16_e32 v232, 0xbbf7, v109
	v_add_f16_e32 v229, v233, v229
	v_mul_f16_e32 v233, 0xb8d2, v102
	v_fmamk_f16 v234, v110, 0xba62, v233
	v_fmac_f16_e32 v233, 0x3a62, v110
	;; [unrolled: 4-line block ×3, first 2 shown]
	v_add_f16_e32 v229, v235, v229
	v_mul_f16_e32 v235, 0x3b29, v112
	v_mul_f16_e32 v112, 0x35c8, v112
	v_fmamk_f16 v236, v40, 0x3722, v235
	v_add_f16_e32 v197, v236, v197
	v_mul_f16_e32 v236, 0xbbdd, v113
	v_fmamk_f16 v237, v162, 0x31e1, v236
	v_fmac_f16_e32 v236, 0xb1e1, v162
	v_add_f16_e32 v229, v237, v229
	v_mul_f16_e32 v237, 0x3b29, v138
	v_fmamk_f16 v238, v106, 0x3722, v237
	v_add_f16_e32 v198, v238, v198
	v_mul_f16_e32 v238, 0xbbf7, v115
	v_mul_f16_e32 v115, 0xb836, v115
	v_fmamk_f16 v239, v99, 0x2de8, v238
	v_add_f16_e32 v197, v239, v197
	v_mul_f16_e32 v239, 0x39e9, v114
	v_fmamk_f16 v240, v166, 0xb964, v239
	v_fmac_f16_e32 v239, 0x3964, v166
	v_add_f16_e32 v229, v240, v229
	v_mul_f16_e32 v240, 0x3a62, v117
	v_mul_f16_e32 v117, 0x3964, v117
	v_fmamk_f16 v241, v101, 0xb8d2, v240
	v_add_f16_e32 v197, v241, v197
	v_mul_f16_e32 v241, 0xb5c8, v118
	v_mul_f16_e32 v118, 0xba62, v118
	v_fmamk_f16 v242, v103, 0x3b76, v241
	;; [unrolled: 4-line block ×3, first 2 shown]
	v_add_f16_e32 v197, v243, v197
	v_mul_f16_e32 v243, 0xb461, v116
	v_fmamk_f16 v244, v176, 0x3bb2, v243
	v_fmac_f16_e32 v243, 0xbbb2, v176
	v_add_f16_e32 v229, v244, v229
	v_mul_f16_e32 v244, 0xbbdd, v39
	v_fmamk_f16 v245, v107, 0x31e1, v244
	v_fmac_f16_e32 v244, 0xb1e1, v107
	v_add_f16_e32 v245, v74, v245
	v_add_f16_e32 v244, v74, v244
	v_add_f16_e32 v245, v247, v245
	v_mul_f16_e32 v247, 0x3964, v137
	v_add_f16_e32 v244, v246, v244
	v_mul_f16_e32 v137, 0xbbb2, v137
	v_mul_f16_e32 v246, 0x2de8, v116
	v_fmamk_f16 v248, v105, 0x39e9, v247
	v_add_f16_e32 v197, v248, v197
	v_mul_f16_e32 v248, 0xbacd, v100
	v_fmamk_f16 v249, v109, 0x3836, v248
	v_fmac_f16_e32 v248, 0xb836, v109
	v_fma_f16 v109, v104, 0x39e9, -v226
	v_add_f16_e32 v245, v249, v245
	v_mul_f16_e32 v249, 0x39e9, v102
	v_add_f16_e32 v244, v248, v244
	v_fmamk_f16 v248, v105, 0xb461, v137
	v_fma_f16 v137, v105, 0xb461, -v137
	v_fmamk_f16 v250, v110, 0xb964, v249
	v_fmac_f16_e32 v249, 0x3964, v110
	v_fma_f16 v110, v40, 0xbacd, -v204
	v_add_f16_e32 v245, v250, v245
	v_mul_f16_e32 v250, 0xb8d2, v111
	v_add_f16_e32 v110, v110, v195
	v_add_f16_e32 v244, v249, v244
	v_fmamk_f16 v251, v160, 0x3a62, v250
	v_fmac_f16_e32 v250, 0xba62, v160
	v_fma_f16 v160, v103, 0xbbdd, -v209
	v_add_f16_e32 v245, v251, v245
	v_fmamk_f16 v251, v40, 0x3b76, v112
	v_fma_f16 v112, v40, 0x3b76, -v112
	v_add_f16_e32 v196, v251, v196
	v_mul_f16_e32 v251, 0xbbb2, v138
	v_add_f16_e32 v112, v112, v193
	v_add_f16_e32 v193, v250, v244
	v_fmamk_f16 v252, v106, 0xb461, v251
	v_add_f16_e32 v197, v252, v197
	v_mul_f16_e32 v252, 0x3722, v113
	v_fmamk_f16 v253, v162, 0xbb29, v252
	v_fmac_f16_e32 v252, 0x3b29, v162
	v_fma_f16 v162, v106, 0xb8d2, -v221
	v_add_f16_e32 v245, v253, v245
	v_fmamk_f16 v253, v99, 0xbacd, v115
	v_fma_f16 v115, v99, 0xbacd, -v115
	v_add_f16_e32 v196, v253, v196
	v_mul_f16_e32 v253, 0xb461, v114
	v_add_f16_e32 v112, v115, v112
	v_add_f16_e32 v115, v252, v193
	v_fmamk_f16 v254, v166, 0x3bb2, v253
	v_fmac_f16_e32 v253, 0xbbb2, v166
	v_mul_f16_e32 v166, 0xb461, v99
	v_add_f16_e32 v245, v254, v245
	v_fmamk_f16 v254, v101, 0x39e9, v117
	v_fma_f16 v117, v101, 0x39e9, -v117
	v_sub_f16_e32 v166, v166, v177
	v_add_f16_e32 v115, v253, v115
	v_add_f16_e32 v196, v254, v196
	;; [unrolled: 1-line block ×3, first 2 shown]
	v_fma_f16 v117, v103, 0xb8d2, -v118
	v_fmamk_f16 v254, v103, 0xb8d2, v118
	v_fma_f16 v118, v104, 0x3722, -v132
	v_add_f16_e32 v112, v117, v112
	v_add_f16_e32 v196, v254, v196
	v_fmamk_f16 v254, v176, 0xbbf7, v246
	v_add_f16_e32 v117, v74, v228
	v_fmac_f16_e32 v246, 0x3bf7, v176
	v_add_f16_e32 v112, v118, v112
	v_mul_f16_e32 v118, 0x3bf7, v138
	v_fma_f16 v138, v99, 0x2de8, -v238
	v_add_f16_e32 v245, v254, v245
	v_fmamk_f16 v254, v104, 0x3722, v132
	v_add_f16_e32 v112, v137, v112
	v_fma_f16 v137, v40, 0x3722, -v235
	v_fmamk_f16 v132, v106, 0x2de8, v118
	v_fma_f16 v118, v106, 0x2de8, -v118
	v_add_f16_e32 v117, v230, v117
	v_add_f16_e32 v196, v254, v196
	;; [unrolled: 1-line block ×5, first 2 shown]
	v_fma_f16 v118, v101, 0xb8d2, -v240
	v_add_f16_e32 v117, v232, v117
	v_add_f16_e32 v137, v138, v137
	;; [unrolled: 1-line block ×10, first 2 shown]
	v_fma_f16 v138, v103, 0x3b76, -v241
	v_add_f16_e32 v117, v236, v117
	v_add_f16_e32 v137, v217, v137
	v_add_f16_e32 v118, v138, v118
	v_fma_f16 v138, v104, 0xbbdd, -v242
	v_add_f16_e32 v117, v239, v117
	v_add_f16_e32 v137, v218, v137
	v_add_f16_e32 v118, v138, v118
	;; [unrolled: 4-line block ×3, first 2 shown]
	v_fma_f16 v183, v105, 0x39e9, -v247
	v_add_f16_e32 v107, v223, v137
	v_fma_f16 v137, v101, 0xbacd, -v224
	v_add_f16_e32 v118, v183, v118
	;; [unrolled: 2-line block ×3, first 2 shown]
	v_add_f16_e32 v138, v183, v138
	v_add_f16_e32 v137, v137, v138
	v_fma_f16 v138, v101, 0x3722, -v208
	v_add_f16_e32 v108, v108, v137
	v_add_f16_e32 v137, v74, v179
	;; [unrolled: 1-line block ×5, first 2 shown]
	v_fma_f16 v137, v105, 0xbbdd, -v231
	v_add_f16_e32 v109, v202, v109
	v_add_f16_e32 v108, v137, v108
	v_fma_f16 v137, v99, 0x39e9, -v206
	v_add_f16_e32 v109, v203, v109
	v_add_f16_e32 v110, v137, v110
	v_fma_f16 v137, v106, 0x3722, -v237
	v_add_f16_e32 v109, v205, v109
	v_add_f16_e32 v110, v138, v110
	v_add_f16_e32 v108, v137, v108
	v_mul_f16_e32 v137, 0x2de8, v39
	v_mul_f16_e32 v138, 0xbbdd, v42
	v_add_f16_e32 v109, v207, v109
	v_add_f16_e32 v110, v160, v110
	v_fma_f16 v160, v104, 0x2de8, -v210
	v_add_f16_e32 v137, v180, v137
	v_add_f16_e32 v138, v181, v138
	;; [unrolled: 1-line block ×5, first 2 shown]
	v_fma_f16 v160, v105, 0x3b76, -v215
	v_add_f16_e32 v137, v138, v137
	v_mul_f16_e32 v138, 0xb461, v100
	v_add_f16_e32 v110, v160, v110
	v_mul_f16_e32 v160, 0xbbdd, v40
	v_add_f16_e32 v138, v182, v138
	v_add_f16_e32 v110, v162, v110
	v_sub_f16_e32 v160, v160, v178
	v_mul_f16_e32 v162, 0x3722, v39
	v_add_f16_e32 v137, v138, v137
	v_mul_f16_e32 v138, 0x3b76, v102
	v_add_f16_e32 v160, v160, v192
	v_add_f16_e32 v162, v167, v162
	v_mul_f16_e32 v167, 0xb8d2, v42
	v_add_f16_e32 v138, v187, v138
	;; [unrolled: 3-line block ×3, first 2 shown]
	v_add_f16_e32 v162, v74, v162
	v_add_f16_e32 v137, v138, v137
	v_mul_f16_e32 v138, 0x3722, v111
	v_sub_f16_e32 v166, v166, v175
	v_add_f16_e32 v162, v167, v162
	v_mul_f16_e32 v167, 0xbbdd, v100
	v_add_f16_e32 v138, v188, v138
	v_add_f16_e32 v160, v166, v160
	v_mul_f16_e32 v166, 0x3722, v103
	v_add_f16_e32 v165, v165, v167
	v_add_f16_e32 v137, v138, v137
	v_mul_f16_e32 v138, 0xbacd, v113
	v_sub_f16_e32 v166, v166, v170
	v_add_f16_e32 v162, v165, v162
	v_mul_f16_e32 v165, 0xb461, v102
	v_add_f16_e32 v138, v185, v138
	v_add_f16_e32 v165, v174, v165
	;; [unrolled: 1-line block ×3, first 2 shown]
	v_mul_f16_e32 v138, 0xb8d2, v114
	v_add_f16_e32 v162, v165, v162
	v_mul_f16_e32 v165, 0xb8d2, v40
	v_add_f16_e32 v138, v184, v138
	v_sub_f16_e32 v159, v165, v159
	v_add_f16_e32 v137, v138, v137
	v_mul_f16_e32 v138, 0x39e9, v116
	v_add_f16_e32 v159, v159, v191
	v_add_f16_e32 v138, v186, v138
	v_add_f16_e32 v137, v138, v137
	v_add_f16_e32 v138, v166, v160
	v_mul_f16_e32 v160, 0xbacd, v104
	v_sub_f16_e32 v160, v160, v164
	v_mul_f16_e32 v164, 0x39e9, v111
	v_add_f16_e32 v138, v160, v138
	v_add_f16_e32 v164, v173, v164
	v_mul_f16_e32 v160, 0xb8d2, v105
	v_add_f16_e32 v162, v164, v162
	v_mul_f16_e32 v164, 0xbbdd, v99
	v_sub_f16_e32 v160, v160, v163
	v_mul_f16_e32 v163, 0x3b76, v113
	v_sub_f16_e32 v158, v164, v158
	v_add_f16_e32 v138, v160, v138
	v_add_f16_e32 v163, v171, v163
	v_mul_f16_e32 v160, 0x39e9, v106
	v_add_f16_e32 v158, v158, v159
	v_mul_f16_e32 v159, 0xb461, v101
	v_sub_f16_e32 v160, v160, v161
	v_add_f16_e32 v161, v163, v162
	v_mul_f16_e32 v162, 0x2de8, v114
	v_sub_f16_e32 v157, v159, v157
	v_mul_f16_e32 v159, 0x39e9, v39
	v_mul_f16_e32 v39, 0x3b76, v39
	v_add_f16_e32 v138, v160, v138
	v_add_f16_e32 v162, v169, v162
	;; [unrolled: 1-line block ×3, first 2 shown]
	v_mul_f16_e32 v158, 0x39e9, v103
	v_add_f16_e32 v145, v145, v159
	v_add_f16_e32 v39, v128, v39
	v_mul_f16_e32 v160, 0xbacd, v116
	v_add_f16_e32 v159, v162, v161
	v_sub_f16_e32 v156, v158, v156
	v_mul_f16_e32 v158, 0x2de8, v42
	v_add_f16_e32 v145, v74, v145
	v_mul_f16_e32 v42, 0x39e9, v42
	v_add_f16_e32 v39, v74, v39
	v_add_f16_e32 v156, v156, v157
	;; [unrolled: 1-line block ×3, first 2 shown]
	v_mul_f16_e32 v157, 0x3b76, v104
	v_add_f16_e32 v42, v131, v42
	v_add_f16_e32 v160, v172, v160
	;; [unrolled: 1-line block ×3, first 2 shown]
	v_mul_f16_e32 v146, 0xb8d2, v100
	v_add_f16_e32 v39, v42, v39
	v_sub_f16_e32 v155, v157, v155
	v_add_f16_e32 v158, v160, v159
	v_add_f16_e32 v146, v147, v146
	v_mul_f16_e32 v147, 0x2de8, v40
	v_mul_f16_e32 v40, 0x39e9, v40
	v_add_f16_e32 v145, v146, v145
	v_mul_f16_e32 v146, 0xbbdd, v102
	v_sub_f16_e32 v141, v147, v141
	v_sub_f16_e32 v40, v40, v125
	v_add_f16_e32 v147, v155, v156
	v_mul_f16_e32 v155, 0x2de8, v105
	v_add_f16_e32 v146, v154, v146
	v_mul_f16_e32 v154, 0xb8d2, v99
	v_add_f16_e32 v141, v141, v190
	v_add_f16_e32 v33, v40, v33
	v_mul_f16_e32 v40, 0x3722, v99
	v_add_f16_e32 v145, v146, v145
	v_sub_f16_e32 v140, v154, v140
	v_mul_f16_e32 v146, 0xbacd, v111
	v_sub_f16_e32 v153, v155, v153
	v_sub_f16_e32 v40, v40, v126
	v_add_f16_e32 v140, v140, v141
	v_mul_f16_e32 v141, 0xbbdd, v101
	v_add_f16_e32 v146, v151, v146
	v_add_f16_e32 v33, v40, v33
	;; [unrolled: 1-line block ×3, first 2 shown]
	v_mul_f16_e32 v153, 0xbacd, v106
	v_sub_f16_e32 v139, v141, v139
	v_add_f16_e32 v141, v146, v145
	v_mul_f16_e32 v145, 0xb461, v113
	v_sub_f16_e32 v148, v153, v148
	v_add_f16_e32 v139, v139, v140
	v_mul_f16_e32 v140, 0x3722, v114
	v_add_f16_e32 v145, v152, v145
	v_add_f16_e32 v89, v90, v139
	v_mul_f16_e32 v90, 0xb461, v104
	v_add_f16_e32 v135, v145, v141
	v_add_f16_e32 v140, v149, v140
	v_sub_f16_e32 v90, v90, v143
	v_add_f16_e32 v98, v140, v135
	v_add_f16_e32 v89, v90, v89
	v_mul_f16_e32 v90, 0x3722, v105
	v_add_f16_e32 v87, v88, v98
	v_sub_f16_e32 v90, v90, v142
	v_add_f16_e32 v88, v90, v89
	v_add_f16_e32 v89, v95, v94
	;; [unrolled: 1-line block ×5, first 2 shown]
	v_mul_f16_e32 v83, 0x3722, v100
	v_add_f16_e32 v42, v42, v91
	v_add_f16_e32 v74, v74, v82
	;; [unrolled: 1-line block ×3, first 2 shown]
	v_mul_f16_e32 v82, 0x2de8, v102
	v_add_f16_e32 v40, v42, v43
	v_add_f16_e32 v42, v74, v81
	;; [unrolled: 1-line block ×4, first 2 shown]
	v_mul_f16_e32 v43, 0x2de8, v101
	v_mul_f16_e32 v74, 0xb461, v111
	v_add_f16_e32 v40, v40, v41
	v_add_f16_e32 v41, v42, v80
	;; [unrolled: 1-line block ×3, first 2 shown]
	v_sub_f16_e32 v43, v43, v123
	v_add_f16_e32 v74, v136, v74
	v_mul_f16_e32 v42, 0xb461, v103
	v_add_f16_e32 v38, v40, v38
	v_add_f16_e32 v40, v41, v79
	v_mul_f16_e32 v41, 0xb8d2, v113
	v_add_f16_e32 v33, v43, v33
	v_sub_f16_e32 v42, v42, v133
	v_add_f16_e32 v39, v74, v39
	v_mul_f16_e32 v43, 0xb8d2, v104
	v_add_f16_e32 v41, v134, v41
	v_add_f16_e32 v37, v38, v37
	;; [unrolled: 1-line block ×4, first 2 shown]
	v_mul_f16_e32 v42, 0xbacd, v114
	v_sub_f16_e32 v43, v43, v124
	v_add_f16_e32 v39, v41, v39
	v_mul_f16_e32 v41, 0xbacd, v105
	v_add_f16_e32 v36, v37, v36
	v_add_f16_e32 v38, v38, v75
	;; [unrolled: 1-line block ×4, first 2 shown]
	v_mul_f16_e32 v37, 0xbbdd, v106
	v_mul_f16_e32 v42, 0xbbdd, v116
	;; [unrolled: 1-line block ×3, first 2 shown]
	v_sub_f16_e32 v41, v41, v119
	v_add_f16_e32 v35, v36, v35
	v_add_f16_e32 v36, v38, v76
	;; [unrolled: 1-line block ×5, first 2 shown]
	v_sub_f16_e32 v37, v37, v120
	v_sub_f16_e32 v38, v74, v121
	v_add_f16_e32 v34, v35, v34
	v_add_f16_e32 v35, v36, v77
	v_fma_f16 v43, v106, 0xb461, -v251
	v_add_f16_e32 v36, v40, v39
	v_add_f16_e32 v33, v37, v33
	;; [unrolled: 1-line block ×4, first 2 shown]
	v_pack_b32_f16 v34, v34, v35
	v_lshl_add_u32 v35, v58, 2, v62
	v_add_f16_e32 v42, v43, v118
	v_pack_b32_f16 v33, v33, v36
	v_pack_b32_f16 v36, v37, v87
	;; [unrolled: 1-line block ×6, first 2 shown]
	v_add_nc_u32_e32 v41, 0x400, v35
	ds_write_b32 v50, v34
	ds_write2_b32 v35, v33, v36 offset0:52 offset1:104
	ds_write2_b32 v35, v37, v38 offset0:156 offset1:208
	;; [unrolled: 1-line block ×3, first 2 shown]
	v_pack_b32_f16 v33, v42, v117
	v_pack_b32_f16 v34, v112, v115
	;; [unrolled: 1-line block ×4, first 2 shown]
	v_add_nc_u32_e32 v38, 0x600, v35
	v_pack_b32_f16 v39, v198, v213
	v_pack_b32_f16 v40, v189, v199
	v_add_nc_u32_e32 v42, 0x800, v35
	v_perm_b32 v43, v73, v31, 0x5040100
	v_perm_b32 v74, v72, v32, 0x5040100
	;; [unrolled: 1-line block ×4, first 2 shown]
	v_add_nc_u32_e32 v35, 0xc00, v35
	ds_write2_b32 v41, v33, v34 offset0:108 offset1:160
	ds_write2_b32 v38, v36, v37 offset0:84 offset1:136
	;; [unrolled: 1-line block ×5, first 2 shown]
.LBB0_9:
	s_or_b32 exec_lo, exec_lo, s1
	s_waitcnt lgkmcnt(0)
	s_barrier
	buffer_gl0_inv
	global_load_dword v42, v[29:30], off offset:1488
	v_add_co_u32 v29, s1, 0xdd0, v63
	v_add_co_ci_u32_e64 v30, s1, 0, v64, s1
	s_clause 0x6
	global_load_dword v78, v[29:30], off offset:272
	global_load_dword v79, v[29:30], off offset:544
	;; [unrolled: 1-line block ×7, first 2 shown]
	v_add_co_u32 v29, s1, 0x1000, v63
	v_add_co_ci_u32_e64 v30, s1, 0, v64, s1
	v_add_co_u32 v33, s1, 0x1800, v63
	v_add_co_ci_u32_e64 v34, s1, 0, v64, s1
	s_clause 0x4
	global_load_dword v64, v[29:30], off offset:1616
	global_load_dword v85, v[29:30], off offset:1888
	;; [unrolled: 1-line block ×5, first 2 shown]
	ds_read2_b32 v[29:30], v50 offset1:68
	v_add_nc_u32_e32 v89, 0x200, v50
	v_lshl_add_u32 v43, v58, 2, v62
	v_add_nc_u32_e32 v39, 0x400, v50
	v_add_nc_u32_e32 v90, 0x600, v50
	v_add_nc_u32_e32 v37, 0x800, v50
	ds_read2_b32 v[33:34], v89 offset0:8 offset1:144
	ds_read_b32 v91, v43 offset:816
	v_add_nc_u32_e32 v63, 0xa00, v50
	ds_read2_b32 v[35:36], v39 offset0:84 offset1:152
	ds_read2_b32 v[40:41], v90 offset0:92 offset1:160
	;; [unrolled: 1-line block ×4, first 2 shown]
	v_mov_b32_e32 v92, 0xba95
	v_mov_b32_e32 v38, 0x388b
	;; [unrolled: 1-line block ×4, first 2 shown]
	s_waitcnt lgkmcnt(6)
	v_lshrrev_b32_e32 v95, 16, v29
	v_lshrrev_b32_e32 v96, 16, v30
	s_waitcnt lgkmcnt(5)
	v_lshrrev_b32_e32 v97, 16, v33
	s_waitcnt lgkmcnt(4)
	v_lshrrev_b32_e32 v98, 16, v91
	v_lshrrev_b32_e32 v99, 16, v34
	s_waitcnt lgkmcnt(3)
	v_lshrrev_b32_e32 v100, 16, v35
	;; [unrolled: 3-line block ×5, first 2 shown]
	v_lshrrev_b32_e32 v109, 16, v77
	s_waitcnt vmcnt(12)
	v_mul_f16_sdwa v105, v95, v42 dst_sel:DWORD dst_unused:UNUSED_PAD src0_sel:DWORD src1_sel:WORD_1
	v_mul_f16_sdwa v106, v29, v42 dst_sel:DWORD dst_unused:UNUSED_PAD src0_sel:DWORD src1_sel:WORD_1
	s_waitcnt vmcnt(10)
	v_mul_f16_sdwa v110, v33, v79 dst_sel:DWORD dst_unused:UNUSED_PAD src0_sel:DWORD src1_sel:WORD_1
	s_waitcnt vmcnt(9)
	v_mul_f16_sdwa v111, v98, v80 dst_sel:DWORD dst_unused:UNUSED_PAD src0_sel:DWORD src1_sel:WORD_1
	v_fma_f16 v29, v29, v42, -v105
	v_fmac_f16_e32 v106, v95, v42
	v_mul_f16_sdwa v42, v96, v78 dst_sel:DWORD dst_unused:UNUSED_PAD src0_sel:DWORD src1_sel:WORD_1
	v_mul_f16_sdwa v95, v30, v78 dst_sel:DWORD dst_unused:UNUSED_PAD src0_sel:DWORD src1_sel:WORD_1
	;; [unrolled: 1-line block ×4, first 2 shown]
	s_waitcnt vmcnt(8)
	v_mul_f16_sdwa v113, v99, v81 dst_sel:DWORD dst_unused:UNUSED_PAD src0_sel:DWORD src1_sel:WORD_1
	v_mul_f16_sdwa v114, v34, v81 dst_sel:DWORD dst_unused:UNUSED_PAD src0_sel:DWORD src1_sel:WORD_1
	s_waitcnt vmcnt(7)
	v_mul_f16_sdwa v115, v100, v82 dst_sel:DWORD dst_unused:UNUSED_PAD src0_sel:DWORD src1_sel:WORD_1
	v_mul_f16_sdwa v116, v35, v82 dst_sel:DWORD dst_unused:UNUSED_PAD src0_sel:DWORD src1_sel:WORD_1
	;; [unrolled: 3-line block ×9, first 2 shown]
	v_fma_f16 v30, v30, v78, -v42
	v_fmac_f16_e32 v95, v96, v78
	v_fma_f16 v42, v91, v80, -v111
	v_fmac_f16_e32 v112, v98, v80
	;; [unrolled: 2-line block ×8, first 2 shown]
	v_pack_b32_f16 v29, v29, v106
	v_fma_f16 v64, v74, v85, -v123
	v_fmac_f16_e32 v124, v104, v85
	v_fma_f16 v74, v75, v86, -v125
	v_fmac_f16_e32 v126, v107, v86
	;; [unrolled: 2-line block ×4, first 2 shown]
	v_pack_b32_f16 v30, v30, v95
	v_pack_b32_f16 v42, v42, v112
	;; [unrolled: 1-line block ×12, first 2 shown]
	ds_write2_b32 v50, v29, v30 offset1:68
	ds_write_b32 v43, v42 offset:816
	ds_write2_b32 v89, v33, v34 offset0:8 offset1:144
	ds_write2_b32 v39, v35, v36 offset0:84 offset1:152
	;; [unrolled: 1-line block ×5, first 2 shown]
	s_waitcnt lgkmcnt(0)
	s_barrier
	buffer_gl0_inv
	ds_read2_b32 v[29:30], v50 offset1:68
	ds_read2_b32 v[33:34], v63 offset0:108 offset1:176
	ds_read2_b32 v[74:75], v89 offset0:8 offset1:144
	ds_read_b32 v64, v43 offset:816
	ds_read2_b32 v[35:36], v37 offset0:100 offset1:168
	ds_read2_b32 v[76:77], v39 offset0:84 offset1:152
	ds_read2_b32 v[78:79], v90 offset0:92 offset1:160
	v_mov_b32_e32 v40, 0xbb7b
	v_mov_b32_e32 v41, 0xb5ac
	;; [unrolled: 1-line block ×13, first 2 shown]
	s_waitcnt lgkmcnt(0)
	s_barrier
	buffer_gl0_inv
	v_pk_add_f16 v90, v29, v30
	v_pk_add_f16 v95, v33, v74
	v_pk_add_f16 v96, v74, v33 neg_lo:[0,1] neg_hi:[0,1]
	v_pk_add_f16 v97, v36, v64
	v_pk_add_f16 v98, v64, v36 neg_lo:[0,1] neg_hi:[0,1]
	v_pk_add_f16 v74, v90, v74
	v_pk_add_f16 v91, v34, v30
	v_pk_add_f16 v30, v30, v34 neg_lo:[0,1] neg_hi:[0,1]
	v_mul_f16_sdwa v114, v96, v40 dst_sel:DWORD dst_unused:UNUSED_PAD src0_sel:WORD_1 src1_sel:DWORD
	v_mul_f16_sdwa v115, v95, v41 dst_sel:DWORD dst_unused:UNUSED_PAD src0_sel:WORD_1 src1_sel:DWORD
	v_pk_add_f16 v64, v74, v64
	v_mul_f16_sdwa v106, v91, v38 dst_sel:DWORD dst_unused:UNUSED_PAD src0_sel:WORD_1 src1_sel:DWORD
	v_mul_f16_sdwa v105, v30, v92 dst_sel:DWORD dst_unused:UNUSED_PAD src0_sel:WORD_1 src1_sel:DWORD
	;; [unrolled: 1-line block ×3, first 2 shown]
	v_pk_mul_f16 v90, 0xb770, v30 op_sel_hi:[0,1]
	v_pk_add_f16 v64, v64, v75
	v_mul_f16_sdwa v108, v91, v94 dst_sel:DWORD dst_unused:UNUSED_PAD src0_sel:WORD_1 src1_sel:DWORD
	v_mul_f16_sdwa v116, v96, v81 dst_sel:DWORD dst_unused:UNUSED_PAD src0_sel:WORD_1 src1_sel:DWORD
	v_fmamk_f16 v141, v91, 0x388b, v105
	v_fmamk_f16 v142, v30, 0x3a95, v106
	v_pk_add_f16 v64, v64, v76
	v_fma_f16 v105, v91, 0x388b, -v105
	v_fmac_f16_e32 v106, 0xba95, v30
	v_fmamk_f16 v143, v91, 0x2fb7, v107
	v_pk_add_f16 v99, v35, v75
	v_pk_add_f16 v64, v64, v77
	v_pk_add_f16 v100, v75, v35 neg_lo:[0,1] neg_hi:[0,1]
	v_mul_f16_sdwa v109, v30, v40 dst_sel:DWORD dst_unused:UNUSED_PAD src0_sel:WORD_1 src1_sel:DWORD
	v_mul_f16_sdwa v110, v91, v41 dst_sel:DWORD dst_unused:UNUSED_PAD src0_sel:WORD_1 src1_sel:DWORD
	;; [unrolled: 1-line block ×3, first 2 shown]
	v_pk_add_f16 v64, v64, v78
	v_pk_mul_f16 v113, 0xba95, v96 op_sel_hi:[0,1]
	v_mul_f16_sdwa v117, v95, v82 dst_sel:DWORD dst_unused:UNUSED_PAD src0_sel:WORD_1 src1_sel:DWORD
	v_mul_f16_sdwa v81, v98, v81 dst_sel:DWORD dst_unused:UNUSED_PAD src0_sel:WORD_1 src1_sel:DWORD
	;; [unrolled: 1-line block ×4, first 2 shown]
	v_pk_fma_f16 v74, 0x3b15, v91, v90 op_sel:[0,0,1] op_sel_hi:[0,1,0]
	v_pk_fma_f16 v90, 0x3b15, v91, v90 op_sel:[0,0,1] op_sel_hi:[0,1,0] neg_lo:[0,0,1] neg_hi:[0,0,1]
	v_fmamk_f16 v144, v30, 0x3bf1, v108
	v_fma_f16 v107, v91, 0x2fb7, -v107
	v_fmac_f16_e32 v108, 0xbbf1, v30
	v_fmamk_f16 v150, v95, 0xb5ac, v114
	v_fmamk_f16 v151, v96, 0x3b7b, v115
	v_fma_f16 v114, v95, 0xb5ac, -v114
	v_fmac_f16_e32 v115, 0xbb7b, v96
	v_fmamk_f16 v152, v95, 0xbbc4, v116
	v_add_f16_e32 v105, v29, v105
	v_add_f16_sdwa v106, v29, v106 dst_sel:DWORD dst_unused:UNUSED_PAD src0_sel:WORD_1 src1_sel:DWORD
	v_add_f16_e32 v143, v29, v143
	v_pk_add_f16 v64, v64, v79
	v_pk_add_f16 v101, v79, v76
	v_pk_add_f16 v102, v76, v79 neg_lo:[0,1] neg_hi:[0,1]
	v_mul_f16_sdwa v112, v91, v42 dst_sel:DWORD dst_unused:UNUSED_PAD src0_sel:WORD_1 src1_sel:DWORD
	v_mul_f16_sdwa v118, v96, v83 dst_sel:DWORD dst_unused:UNUSED_PAD src0_sel:WORD_1 src1_sel:DWORD
	;; [unrolled: 1-line block ×4, first 2 shown]
	v_pk_mul_f16 v122, 0xbbf1, v98 op_sel_hi:[0,1]
	v_mul_f16_sdwa v124, v97, v41 dst_sel:DWORD dst_unused:UNUSED_PAD src0_sel:WORD_1 src1_sel:DWORD
	v_mul_f16_sdwa v83, v100, v83 dst_sel:DWORD dst_unused:UNUSED_PAD src0_sel:WORD_1 src1_sel:DWORD
	v_mul_f16_sdwa v130, v99, v42 dst_sel:DWORD dst_unused:UNUSED_PAD src0_sel:WORD_1 src1_sel:DWORD
	v_mul_f16_sdwa v131, v100, v86 dst_sel:DWORD dst_unused:UNUSED_PAD src0_sel:WORD_1 src1_sel:DWORD
	v_fmamk_f16 v145, v91, 0xb5ac, v109
	v_fmamk_f16 v146, v30, 0x3b7b, v110
	v_fma_f16 v109, v91, 0xb5ac, -v109
	v_fmac_f16_e32 v110, 0xbb7b, v30
	v_fmamk_f16 v147, v91, 0xb9fd, v111
	v_pk_fma_f16 v149, 0x388b, v95, v113 op_sel:[0,0,1] op_sel_hi:[0,1,0]
	v_pk_fma_f16 v113, 0x388b, v95, v113 op_sel:[0,0,1] op_sel_hi:[0,1,0] neg_lo:[0,0,1] neg_hi:[0,0,1]
	v_fmamk_f16 v153, v96, 0x33a8, v117
	v_fma_f16 v116, v95, 0xbbc4, -v116
	v_fmac_f16_e32 v117, 0xb3a8, v96
	v_fmamk_f16 v159, v97, 0xbbc4, v81
	v_fmamk_f16 v160, v98, 0x33a8, v123
	v_fma_f16 v81, v97, 0xbbc4, -v81
	v_fmac_f16_e32 v123, 0xb3a8, v98
	v_fmamk_f16 v161, v97, 0xb5ac, v85
	v_bfi_b32 v75, 0xffff, v74, v90
	v_add_f16_sdwa v144, v29, v144 dst_sel:DWORD dst_unused:UNUSED_PAD src0_sel:WORD_1 src1_sel:DWORD
	v_add_f16_e32 v107, v29, v107
	v_add_f16_sdwa v108, v29, v108 dst_sel:DWORD dst_unused:UNUSED_PAD src0_sel:WORD_1 src1_sel:DWORD
	v_add_f16_e32 v105, v114, v105
	v_add_f16_e32 v106, v115, v106
	;; [unrolled: 1-line block ×3, first 2 shown]
	v_pk_add_f16 v35, v64, v35
	v_pk_add_f16 v104, v77, v78 neg_lo:[0,1] neg_hi:[0,1]
	v_mul_f16_sdwa v121, v95, v94 dst_sel:DWORD dst_unused:UNUSED_PAD src0_sel:WORD_1 src1_sel:DWORD
	v_mul_f16_sdwa v125, v98, v86 dst_sel:DWORD dst_unused:UNUSED_PAD src0_sel:WORD_1 src1_sel:DWORD
	;; [unrolled: 1-line block ×4, first 2 shown]
	v_pk_mul_f16 v129, 0xbb7b, v100 op_sel_hi:[0,1]
	v_mul_f16_sdwa v132, v99, v87 dst_sel:DWORD dst_unused:UNUSED_PAD src0_sel:WORD_1 src1_sel:DWORD
	v_mul_f16_sdwa v133, v99, v94 dst_sel:DWORD dst_unused:UNUSED_PAD src0_sel:WORD_1 src1_sel:DWORD
	;; [unrolled: 1-line block ×4, first 2 shown]
	v_fmamk_f16 v148, v30, 0x394e, v112
	v_fmac_f16_e32 v112, 0xb94e, v30
	v_fmamk_f16 v154, v95, 0xb9fd, v118
	v_fmamk_f16 v155, v96, 0xb94e, v119
	v_fma_f16 v118, v95, 0xb9fd, -v118
	v_fmac_f16_e32 v119, 0x394e, v96
	v_fmamk_f16 v156, v95, 0x2fb7, v120
	v_pk_fma_f16 v158, 0x2fb7, v97, v122 op_sel:[0,0,1] op_sel_hi:[0,1,0]
	v_pk_fma_f16 v122, 0x2fb7, v97, v122 op_sel:[0,0,1] op_sel_hi:[0,1,0] neg_lo:[0,0,1] neg_hi:[0,0,1]
	v_fmamk_f16 v162, v98, 0xbb7b, v124
	v_fma_f16 v85, v97, 0xb5ac, -v85
	v_fmac_f16_e32 v124, 0x3b7b, v98
	v_fmamk_f16 v168, v99, 0xb9fd, v83
	v_fmamk_f16 v169, v100, 0xb94e, v130
	v_fma_f16 v83, v99, 0xb9fd, -v83
	v_fmac_f16_e32 v130, 0x394e, v100
	v_fmamk_f16 v170, v99, 0x3b15, v131
	v_add_f16_e32 v145, v29, v145
	v_add_f16_e32 v109, v29, v109
	v_add_f16_sdwa v110, v29, v110 dst_sel:DWORD dst_unused:UNUSED_PAD src0_sel:WORD_1 src1_sel:DWORD
	v_add_f16_e32 v147, v29, v147
	v_bfi_b32 v188, 0xffff, v149, v113
	v_pk_add_f16 v75, v29, v75
	v_add_f16_e32 v115, v153, v144
	v_add_f16_e32 v107, v116, v107
	;; [unrolled: 1-line block ×6, first 2 shown]
	v_pk_add_f16 v35, v35, v36
	v_pk_add_f16 v103, v78, v77
	v_mul_f16_sdwa v128, v97, v38 dst_sel:DWORD dst_unused:UNUSED_PAD src0_sel:WORD_1 src1_sel:DWORD
	v_mul_f16_sdwa v93, v100, v93 dst_sel:DWORD dst_unused:UNUSED_PAD src0_sel:WORD_1 src1_sel:DWORD
	;; [unrolled: 1-line block ×3, first 2 shown]
	v_pk_mul_f16 v136, 0xb94e, v102 op_sel_hi:[0,1]
	v_mul_f16_sdwa v84, v102, v84 dst_sel:DWORD dst_unused:UNUSED_PAD src0_sel:WORD_1 src1_sel:DWORD
	v_mul_f16_sdwa v137, v101, v38 dst_sel:DWORD dst_unused:UNUSED_PAD src0_sel:WORD_1 src1_sel:DWORD
	;; [unrolled: 1-line block ×3, first 2 shown]
	v_fmamk_f16 v157, v96, 0xbbf1, v121
	v_fmac_f16_e32 v121, 0x3bf1, v96
	v_fmamk_f16 v163, v97, 0x3b15, v125
	v_fmamk_f16 v164, v98, 0xb770, v126
	v_fma_f16 v125, v97, 0x3b15, -v125
	v_fmac_f16_e32 v126, 0x3770, v98
	v_fmamk_f16 v165, v97, 0x388b, v127
	v_pk_fma_f16 v167, 0xb5ac, v99, v129 op_sel:[0,0,1] op_sel_hi:[0,1,0]
	v_pk_fma_f16 v129, 0xb5ac, v99, v129 op_sel:[0,0,1] op_sel_hi:[0,1,0] neg_lo:[0,0,1] neg_hi:[0,0,1]
	v_fmamk_f16 v171, v100, 0xb770, v132
	v_fma_f16 v131, v99, 0x3b15, -v131
	v_fmac_f16_e32 v132, 0x3770, v100
	v_fmamk_f16 v178, v102, 0xbbf1, v94
	v_fmac_f16_e32 v94, 0x3bf1, v102
	v_fmamk_f16 v179, v101, 0x388b, v92
	v_add_f16_e32 v141, v29, v141
	v_add_f16_sdwa v142, v29, v142 dst_sel:DWORD dst_unused:UNUSED_PAD src0_sel:WORD_1 src1_sel:DWORD
	v_add_f16_sdwa v112, v29, v112 dst_sel:DWORD dst_unused:UNUSED_PAD src0_sel:WORD_1 src1_sel:DWORD
	v_bfi_b32 v189, 0xffff, v158, v122
	v_add_f16_e32 v116, v154, v145
	v_add_f16_e32 v109, v118, v109
	;; [unrolled: 1-line block ×4, first 2 shown]
	v_pk_add_f16 v75, v188, v75
	v_add_f16_e32 v114, v162, v115
	v_add_f16_e32 v85, v85, v107
	;; [unrolled: 1-line block ×6, first 2 shown]
	v_pk_add_f16 v33, v35, v33
	v_mul_f16_sdwa v135, v99, v82 dst_sel:DWORD dst_unused:UNUSED_PAD src0_sel:WORD_1 src1_sel:DWORD
	v_mul_f16_sdwa v82, v101, v82 dst_sel:DWORD dst_unused:UNUSED_PAD src0_sel:WORD_1 src1_sel:DWORD
	;; [unrolled: 1-line block ×3, first 2 shown]
	v_pk_mul_f16 v140, 0xb3a8, v104 op_sel_hi:[0,1]
	v_fmamk_f16 v166, v98, 0x3a95, v128
	v_fmac_f16_e32 v128, 0xba95, v98
	v_fmamk_f16 v172, v99, 0x2fb7, v93
	v_fmamk_f16 v173, v100, 0x3bf1, v133
	v_fma_f16 v93, v99, 0x2fb7, -v93
	v_fmac_f16_e32 v133, 0xbbf1, v100
	v_fmamk_f16 v174, v99, 0xbbc4, v134
	v_pk_fma_f16 v176, 0xb9fd, v101, v136 op_sel:[0,0,1] op_sel_hi:[0,1,0]
	v_pk_fma_f16 v136, 0xb9fd, v101, v136 op_sel:[0,0,1] op_sel_hi:[0,1,0] neg_lo:[0,0,1] neg_hi:[0,0,1]
	v_fmamk_f16 v177, v101, 0x2fb7, v84
	v_fma_f16 v84, v101, 0x2fb7, -v84
	v_fmamk_f16 v180, v102, 0x3a95, v137
	v_fma_f16 v92, v101, 0x388b, -v92
	v_fmac_f16_e32 v137, 0xba95, v102
	v_bfi_b32 v190, 0xffff, v167, v129
	v_add_f16_e32 v76, v150, v141
	v_add_f16_e32 v141, v151, v142
	;; [unrolled: 1-line block ×7, first 2 shown]
	v_pk_add_f16 v75, v189, v75
	v_add_f16_e32 v105, v171, v114
	v_add_f16_e32 v85, v131, v85
	;; [unrolled: 1-line block ×5, first 2 shown]
	v_pk_add_f16 v33, v33, v34
	v_fmamk_f16 v34, v103, 0xb9fd, v80
	v_mul_f16_sdwa v42, v103, v42 dst_sel:DWORD dst_unused:UNUSED_PAD src0_sel:WORD_1 src1_sel:DWORD
	v_mul_f16_sdwa v139, v101, v87 dst_sel:DWORD dst_unused:UNUSED_PAD src0_sel:WORD_1 src1_sel:DWORD
	v_fmamk_f16 v175, v100, 0xb3a8, v135
	v_fmac_f16_e32 v135, 0x33a8, v100
	v_fmamk_f16 v182, v102, 0xb3a8, v82
	v_fmac_f16_e32 v82, 0x33a8, v102
	v_fmamk_f16 v183, v101, 0x3b15, v138
	v_pk_fma_f16 v185, 0xbbc4, v103, v140 op_sel:[0,0,1] op_sel_hi:[0,1,0]
	v_pk_fma_f16 v140, 0xbbc4, v103, v140 op_sel:[0,0,1] op_sel_hi:[0,1,0] neg_lo:[0,0,1] neg_hi:[0,0,1]
	v_bfi_b32 v191, 0xffff, v176, v136
	v_add_f16_e32 v76, v159, v76
	v_add_f16_e32 v77, v160, v141
	;; [unrolled: 1-line block ×6, first 2 shown]
	v_pk_add_f16 v75, v190, v75
	v_add_f16_e32 v78, v84, v78
	v_add_f16_e32 v83, v180, v105
	;; [unrolled: 1-line block ×5, first 2 shown]
	v_fmamk_f16 v81, v104, 0x394e, v42
	v_fmac_f16_e32 v42, 0xb94e, v104
	v_mul_f16_sdwa v38, v103, v38 dst_sel:DWORD dst_unused:UNUSED_PAD src0_sel:WORD_1 src1_sel:DWORD
	v_mul_f16_sdwa v40, v104, v40 dst_sel:DWORD dst_unused:UNUSED_PAD src0_sel:WORD_1 src1_sel:DWORD
	;; [unrolled: 1-line block ×4, first 2 shown]
	v_fmamk_f16 v184, v102, 0xb770, v139
	v_fmac_f16_e32 v139, 0x3770, v102
	v_bfi_b32 v192, 0xffff, v185, v140
	v_add_f16_e32 v76, v168, v76
	v_add_f16_e32 v77, v169, v77
	;; [unrolled: 1-line block ×5, first 2 shown]
	v_pk_add_f16 v75, v191, v75
	v_add_f16_e32 v81, v81, v83
	v_add_f16_e32 v42, v42, v85
	v_fmamk_f16 v83, v104, 0xba95, v38
	v_fmac_f16_e32 v38, 0x3a95, v104
	v_mul_f16_sdwa v41, v103, v41 dst_sel:DWORD dst_unused:UNUSED_PAD src0_sel:WORD_1 src1_sel:DWORD
	v_fmamk_f16 v85, v103, 0xb5ac, v40
	v_mul_f16_sdwa v88, v102, v88 dst_sel:DWORD dst_unused:UNUSED_PAD src0_sel:WORD_1 src1_sel:DWORD
	v_fmamk_f16 v186, v103, 0x3b15, v86
	v_fmamk_f16 v187, v104, 0xb770, v87
	v_fma_f16 v86, v103, 0x3b15, -v86
	v_add_f16_e32 v76, v177, v76
	v_add_f16_e32 v77, v178, v77
	;; [unrolled: 1-line block ×3, first 2 shown]
	v_pk_add_f16 v75, v192, v75
	v_add_f16_e32 v38, v38, v82
	v_fmamk_f16 v82, v104, 0x3b7b, v41
	v_fmac_f16_e32 v41, 0xbb7b, v104
	v_add_f16_e32 v36, v85, v36
	v_pk_mul_f16 v85, 0xbbc4, v91 op_sel_hi:[0,1]
	v_fmamk_f16 v181, v101, 0xbbc4, v88
	v_fmac_f16_e32 v87, 0x3770, v104
	v_add_f16_e32 v107, v172, v108
	v_add_f16_e32 v76, v186, v76
	;; [unrolled: 1-line block ×4, first 2 shown]
	v_mul_f16_sdwa v86, v104, v89 dst_sel:DWORD dst_unused:UNUSED_PAD src0_sel:WORD_1 src1_sel:DWORD
	v_add_f16_e32 v35, v41, v35
	v_pk_fma_f16 v41, 0xb3a8, v30, v85 op_sel:[0,0,1] op_sel_hi:[0,1,0]
	ds_write2_b32 v65, v33, v75 offset1:1
	v_pk_mul_f16 v33, 0x3b15, v95 op_sel_hi:[0,1]
	v_add_f16_e32 v64, v181, v107
	v_add_f16_e32 v79, v87, v79
	v_fma_f16 v80, v103, 0xb9fd, -v80
	v_fmamk_f16 v87, v103, 0x388b, v86
	v_alignbit_b32 v75, s0, v41, 16
	v_pack_b32_f16 v34, v34, v81
	v_pack_b32_f16 v76, v76, v77
	v_pk_fma_f16 v30, 0xb3a8, v30, v85 op_sel:[0,0,1] op_sel_hi:[0,1,0] neg_lo:[0,1,0] neg_hi:[0,1,0]
	v_pk_fma_f16 v77, 0x3770, v96, v33 op_sel:[0,0,1] op_sel_hi:[0,1,0]
	v_pk_mul_f16 v81, 0xb9fd, v97 op_sel_hi:[0,1]
	v_alignbit_b32 v85, s0, v29, 16
	v_add_f16_e32 v80, v80, v84
	v_add_f16_e32 v64, v87, v64
	v_fma_f16 v84, v103, 0x388b, -v86
	v_pk_add_f16 v75, v29, v75
	v_pk_add_f16 v30, v29, v30 op_sel:[1,0] op_sel_hi:[0,1]
	v_alignbit_b32 v86, s0, v77, 16
	v_pk_fma_f16 v33, 0x3770, v96, v33 op_sel:[0,0,1] op_sel_hi:[0,1,0] neg_lo:[0,1,0] neg_hi:[0,1,0]
	v_pk_fma_f16 v87, 0xb94e, v98, v81 op_sel:[0,0,1] op_sel_hi:[0,1,0]
	v_pk_add_f16 v41, v85, v41
	v_pk_mul_f16 v85, 0x388b, v99 op_sel_hi:[0,1]
	v_fma_f16 v111, v91, 0xb9fd, -v111
	v_pk_add_f16 v75, v86, v75
	v_pk_add_f16 v30, v33, v30
	v_alignbit_b32 v33, s0, v87, 16
	v_pk_fma_f16 v81, 0xb94e, v98, v81 op_sel:[0,0,1] op_sel_hi:[0,1,0] neg_lo:[0,1,0] neg_hi:[0,1,0]
	v_pk_fma_f16 v86, 0x3a95, v100, v85 op_sel:[0,0,1] op_sel_hi:[0,1,0]
	v_pk_add_f16 v41, v77, v41
	v_pk_mul_f16 v77, 0xb5ac, v101 op_sel_hi:[0,1]
	v_add_f16_sdwa v146, v29, v146 dst_sel:DWORD dst_unused:UNUSED_PAD src0_sel:WORD_1 src1_sel:DWORD
	v_add_f16_sdwa v148, v29, v148 dst_sel:DWORD dst_unused:UNUSED_PAD src0_sel:WORD_1 src1_sel:DWORD
	v_fma_f16 v120, v95, 0x2fb7, -v120
	v_add_f16_e32 v111, v29, v111
	v_pk_add_f16 v33, v33, v75
	v_pk_add_f16 v30, v81, v30
	v_alignbit_b32 v75, s0, v86, 16
	v_pk_fma_f16 v81, 0x3a95, v100, v85 op_sel:[0,0,1] op_sel_hi:[0,1,0] neg_lo:[0,1,0] neg_hi:[0,1,0]
	v_pk_fma_f16 v85, 0xbb7b, v102, v77 op_sel:[0,0,1] op_sel_hi:[0,1,0]
	v_bfi_b32 v74, 0xffff, v90, v74
	v_add_f16_e32 v117, v155, v146
	v_add_f16_e32 v119, v157, v148
	v_fma_f16 v127, v97, 0x388b, -v127
	v_add_f16_e32 v111, v120, v111
	v_pk_add_f16 v41, v87, v41
	v_pk_add_f16 v33, v75, v33
	v_pk_add_f16 v30, v81, v30
	v_alignbit_b32 v75, s0, v85, 16
	v_pk_mul_f16 v81, 0x2fb7, v103 op_sel_hi:[0,1]
	v_pk_add_f16 v29, v29, v74
	v_bfi_b32 v74, 0xffff, v113, v149
	v_add_f16_e32 v115, v164, v117
	v_add_f16_e32 v117, v166, v119
	v_fma_f16 v134, v99, 0xbbc4, -v134
	v_add_f16_e32 v111, v127, v111
	v_pk_add_f16 v41, v86, v41
	v_pk_fma_f16 v77, 0xbb7b, v102, v77 op_sel:[0,0,1] op_sel_hi:[0,1,0] neg_lo:[0,1,0] neg_hi:[0,1,0]
	v_pk_add_f16 v33, v75, v33
	v_pk_fma_f16 v75, 0x3bf1, v104, v81 op_sel:[0,0,1] op_sel_hi:[0,1,0]
	v_pk_add_f16 v29, v74, v29
	v_bfi_b32 v74, 0xffff, v122, v158
	v_fma_f16 v88, v101, 0xbbc4, -v88
	v_add_f16_e32 v108, v173, v115
	v_add_f16_e32 v114, v175, v117
	v_fma_f16 v138, v101, 0x3b15, -v138
	v_add_f16_e32 v111, v134, v111
	v_pk_add_f16 v30, v77, v30
	v_pk_add_f16 v41, v85, v41
	v_alignbit_b32 v77, s0, v75, 16
	v_pk_fma_f16 v81, 0x3bf1, v104, v81 op_sel:[0,0,1] op_sel_hi:[0,1,0] neg_lo:[0,1,0] neg_hi:[0,1,0]
	v_pk_add_f16 v29, v74, v29
	v_bfi_b32 v74, 0xffff, v129, v167
	v_add_f16_e32 v92, v182, v108
	v_add_f16_e32 v88, v88, v93
	;; [unrolled: 1-line block ×4, first 2 shown]
	v_fma_f16 v40, v103, 0xb5ac, -v40
	ds_write2_b32 v65, v76, v34 offset0:2 offset1:3
	v_pk_add_f16 v33, v77, v33
	v_pk_add_f16 v30, v81, v30
	;; [unrolled: 1-line block ×4, first 2 shown]
	v_bfi_b32 v41, 0xffff, v136, v176
	v_add_f16_e32 v83, v83, v92
	v_add_f16_e32 v82, v82, v93
	;; [unrolled: 1-line block ×4, first 2 shown]
	v_alignbit_b32 v34, v34, v30, 16
	v_pack_b32_f16 v30, v33, v30
	v_pk_add_f16 v29, v41, v29
	v_bfi_b32 v33, 0xffff, v140, v185
	v_pack_b32_f16 v36, v36, v82
	v_pack_b32_f16 v74, v64, v83
	;; [unrolled: 1-line block ×6, first 2 shown]
	v_pk_add_f16 v64, v33, v29
	ds_write2_b32 v65, v74, v36 offset0:4 offset1:5
	ds_write2_b32 v65, v30, v34 offset0:6 offset1:7
	;; [unrolled: 1-line block ×4, first 2 shown]
	ds_write_b32 v65, v64 offset:48
	s_waitcnt lgkmcnt(0)
	s_barrier
	buffer_gl0_inv
	ds_read2_b32 v[33:34], v50 offset1:68
	ds_read2_b32 v[29:30], v50 offset0:136 offset1:221
	ds_read2_b32 v[41:42], v39 offset0:186 offset1:254
	;; [unrolled: 1-line block ×5, first 2 shown]
	v_lshrrev_b32_e32 v65, 16, v64
	s_and_saveexec_b32 s1, vcc_lo
	s_cbranch_execz .LBB0_11
; %bb.10:
	v_add_nc_u32_e32 v31, 0x680, v50
	ds_read_b32 v64, v43 offset:816
	ds_read2_b32 v[31:32], v31 offset0:9 offset1:230
	ds_read_b32 v46, v50 offset:3468
	s_waitcnt lgkmcnt(2)
	v_lshrrev_b32_e32 v65, 16, v64
	s_waitcnt lgkmcnt(1)
	v_lshrrev_b32_e32 v73, 16, v31
	v_lshrrev_b32_e32 v72, 16, v32
	s_waitcnt lgkmcnt(0)
	v_lshrrev_b32_e32 v71, 16, v46
.LBB0_11:
	s_or_b32 exec_lo, exec_lo, s1
	s_waitcnt lgkmcnt(4)
	v_lshrrev_b32_e32 v74, 16, v30
	s_waitcnt lgkmcnt(3)
	v_lshrrev_b32_e32 v75, 16, v41
	;; [unrolled: 2-line block ×3, first 2 shown]
	v_lshrrev_b32_e32 v79, 16, v42
	v_mul_f16_sdwa v86, v25, v30 dst_sel:DWORD dst_unused:UNUSED_PAD src0_sel:WORD_1 src1_sel:DWORD
	v_mul_f16_sdwa v85, v25, v74 dst_sel:DWORD dst_unused:UNUSED_PAD src0_sel:WORD_1 src1_sel:DWORD
	;; [unrolled: 1-line block ×4, first 2 shown]
	s_waitcnt lgkmcnt(1)
	v_lshrrev_b32_e32 v78, 16, v39
	s_waitcnt lgkmcnt(0)
	v_lshrrev_b32_e32 v80, 16, v35
	v_lshrrev_b32_e32 v83, 16, v37
	v_mul_f16_sdwa v89, v27, v76 dst_sel:DWORD dst_unused:UNUSED_PAD src0_sel:WORD_1 src1_sel:DWORD
	v_fmac_f16_e32 v85, v25, v30
	v_fma_f16 v25, v25, v74, -v86
	v_fmac_f16_e32 v87, v26, v41
	v_fma_f16 v26, v26, v75, -v88
	v_mul_f16_sdwa v30, v27, v38 dst_sel:DWORD dst_unused:UNUSED_PAD src0_sel:WORD_1 src1_sel:DWORD
	v_mul_f16_sdwa v74, v23, v79 dst_sel:DWORD dst_unused:UNUSED_PAD src0_sel:WORD_1 src1_sel:DWORD
	;; [unrolled: 1-line block ×3, first 2 shown]
	v_lshrrev_b32_e32 v82, 16, v40
	v_lshrrev_b32_e32 v84, 16, v36
	v_fmac_f16_e32 v89, v27, v38
	v_mul_f16_sdwa v38, v22, v78 dst_sel:DWORD dst_unused:UNUSED_PAD src0_sel:WORD_1 src1_sel:DWORD
	v_mul_f16_sdwa v41, v22, v39 dst_sel:DWORD dst_unused:UNUSED_PAD src0_sel:WORD_1 src1_sel:DWORD
	v_fma_f16 v27, v27, v76, -v30
	v_fmac_f16_e32 v74, v23, v42
	v_fma_f16 v23, v23, v79, -v75
	v_mul_f16_sdwa v30, v24, v80 dst_sel:DWORD dst_unused:UNUSED_PAD src0_sel:WORD_1 src1_sel:DWORD
	v_mul_f16_sdwa v75, v20, v83 dst_sel:DWORD dst_unused:UNUSED_PAD src0_sel:WORD_1 src1_sel:DWORD
	v_lshrrev_b32_e32 v63, 16, v33
	v_fmac_f16_e32 v38, v22, v39
	v_fma_f16 v22, v22, v78, -v41
	v_mul_f16_sdwa v39, v24, v35 dst_sel:DWORD dst_unused:UNUSED_PAD src0_sel:WORD_1 src1_sel:DWORD
	v_mul_f16_sdwa v41, v19, v82 dst_sel:DWORD dst_unused:UNUSED_PAD src0_sel:WORD_1 src1_sel:DWORD
	;; [unrolled: 1-line block ×3, first 2 shown]
	v_fmac_f16_e32 v30, v24, v35
	v_fmac_f16_e32 v75, v20, v37
	v_mul_f16_sdwa v35, v20, v37 dst_sel:DWORD dst_unused:UNUSED_PAD src0_sel:WORD_1 src1_sel:DWORD
	v_mul_f16_sdwa v37, v21, v84 dst_sel:DWORD dst_unused:UNUSED_PAD src0_sel:WORD_1 src1_sel:DWORD
	v_fma_f16 v24, v24, v80, -v39
	v_fmac_f16_e32 v41, v19, v40
	v_fma_f16 v19, v19, v82, -v42
	v_mul_f16_sdwa v39, v21, v36 dst_sel:DWORD dst_unused:UNUSED_PAD src0_sel:WORD_1 src1_sel:DWORD
	v_mul_f16_sdwa v76, v16, v73 dst_sel:DWORD dst_unused:UNUSED_PAD src0_sel:WORD_1 src1_sel:DWORD
	;; [unrolled: 1-line block ×3, first 2 shown]
	v_fma_f16 v42, v20, v83, -v35
	v_fmac_f16_e32 v37, v21, v36
	v_mul_f16_sdwa v36, v17, v72 dst_sel:DWORD dst_unused:UNUSED_PAD src0_sel:WORD_1 src1_sel:DWORD
	v_sub_f16_e32 v20, v33, v87
	v_sub_f16_e32 v35, v63, v26
	;; [unrolled: 1-line block ×3, first 2 shown]
	v_fmac_f16_e32 v76, v16, v31
	v_fma_f16 v31, v16, v73, -v40
	v_fmac_f16_e32 v36, v17, v32
	v_fma_f16 v16, v33, 2.0, -v20
	v_fma_f16 v33, v63, 2.0, -v35
	;; [unrolled: 1-line block ×3, first 2 shown]
	v_mul_f16_sdwa v32, v17, v32 dst_sel:DWORD dst_unused:UNUSED_PAD src0_sel:WORD_1 src1_sel:DWORD
	v_mul_f16_sdwa v73, v18, v71 dst_sel:DWORD dst_unused:UNUSED_PAD src0_sel:WORD_1 src1_sel:DWORD
	;; [unrolled: 1-line block ×3, first 2 shown]
	v_lshrrev_b32_e32 v77, 16, v34
	v_sub_f16_e32 v40, v33, v25
	v_fma_f16 v25, v17, v72, -v32
	v_fmac_f16_e32 v73, v18, v46
	v_fma_f16 v32, v18, v71, -v63
	v_sub_f16_e32 v18, v34, v74
	v_sub_f16_e32 v30, v38, v30
	v_add_f16_e32 v27, v20, v27
	v_sub_f16_e32 v71, v77, v23
	v_sub_f16_e32 v23, v22, v24
	v_fma_f16 v24, v34, 2.0, -v18
	v_fma_f16 v34, v38, 2.0, -v30
	;; [unrolled: 1-line block ×5, first 2 shown]
	v_sub_f16_e32 v37, v41, v37
	v_sub_f16_e32 v20, v24, v34
	;; [unrolled: 1-line block ×3, first 2 shown]
	v_lshrrev_b32_e32 v81, 16, v29
	v_fma_f16 v21, v21, v84, -v39
	v_sub_f16_e32 v63, v38, v22
	v_fma_f16 v22, v24, 2.0, -v20
	v_fma_f16 v29, v29, 2.0, -v34
	;; [unrolled: 1-line block ×3, first 2 shown]
	v_sub_f16_e32 v39, v85, v89
	v_sub_f16_e32 v75, v19, v21
	v_add_f16_e32 v21, v18, v23
	v_sub_f16_e32 v77, v65, v25
	v_sub_f16_e32 v24, v29, v24
	v_fma_f16 v26, v85, 2.0, -v39
	v_sub_f16_e32 v72, v35, v39
	v_sub_f16_e32 v39, v81, v42
	v_fma_f16 v23, v18, 2.0, -v21
	v_fma_f16 v18, v29, 2.0, -v24
	v_sub_f16_e32 v29, v31, v32
	v_sub_f16_e32 v26, v16, v26
	;; [unrolled: 1-line block ×3, first 2 shown]
	v_fma_f16 v30, v81, 2.0, -v39
	v_fma_f16 v19, v19, 2.0, -v75
	;; [unrolled: 1-line block ×3, first 2 shown]
	v_sub_f16_e32 v36, v64, v36
	v_sub_f16_e32 v38, v76, v73
	v_add_f16_e32 v25, v34, v75
	v_fma_f16 v75, v65, 2.0, -v77
	v_fma_f16 v32, v31, 2.0, -v29
	;; [unrolled: 1-line block ×5, first 2 shown]
	v_sub_f16_e32 v74, v30, v19
	v_fma_f16 v73, v64, 2.0, -v36
	v_fma_f16 v19, v76, 2.0, -v38
	v_sub_f16_e32 v78, v75, v32
	v_add_f16_e32 v32, v36, v29
	v_sub_f16_e32 v76, v39, v37
	v_fma_f16 v64, v30, 2.0, -v74
	v_sub_f16_e32 v31, v73, v19
	v_fma_f16 v19, v34, 2.0, -v25
	;; [unrolled: 2-line block ×3, first 2 shown]
	v_pack_b32_f16 v34, v16, v33
	v_pack_b32_f16 v36, v17, v35
	v_fma_f16 v42, v71, 2.0, -v46
	v_fma_f16 v71, v39, 2.0, -v76
	;; [unrolled: 1-line block ×5, first 2 shown]
	s_barrier
	buffer_gl0_inv
	ds_write2_b32 v70, v34, v36 offset1:13
	v_pack_b32_f16 v34, v26, v40
	v_pack_b32_f16 v36, v27, v72
	;; [unrolled: 1-line block ×10, first 2 shown]
	ds_write2_b32 v70, v34, v36 offset0:26 offset1:39
	ds_write2_b32 v69, v37, v38 offset1:13
	ds_write2_b32 v69, v39, v75 offset0:26 offset1:39
	ds_write2_b32 v68, v79, v80 offset1:13
	ds_write2_b32 v68, v81, v82 offset0:26 offset1:39
	s_and_saveexec_b32 s1, vcc_lo
	s_cbranch_execz .LBB0_13
; %bb.12:
	v_mad_u16 v34, v66, 52, v67
	v_perm_b32 v36, v73, v29, 0x5040100
	v_perm_b32 v37, v77, v30, 0x5040100
	;; [unrolled: 1-line block ×4, first 2 shown]
	v_and_b32_e32 v34, 0xffff, v34
	v_lshl_add_u32 v34, v34, 2, v62
	ds_write2_b32 v34, v36, v37 offset1:13
	ds_write2_b32 v34, v38, v39 offset0:26 offset1:39
.LBB0_13:
	s_or_b32 exec_lo, exec_lo, s1
	s_waitcnt lgkmcnt(0)
	s_barrier
	buffer_gl0_inv
	s_and_saveexec_b32 s1, s0
	s_cbranch_execz .LBB0_15
; %bb.14:
	v_add_nc_u32_e32 v19, 0x400, v50
	v_add_nc_u32_e32 v29, 0x800, v50
	;; [unrolled: 1-line block ×4, first 2 shown]
	ds_read2_b32 v[16:17], v50 offset1:52
	ds_read2_b32 v[26:27], v50 offset0:104 offset1:156
	ds_read2_b32 v[22:23], v18 offset0:80 offset1:132
	;; [unrolled: 1-line block ×7, first 2 shown]
	ds_read_b32 v44, v50 offset:3328
	s_waitcnt lgkmcnt(8)
	v_lshrrev_b32_e32 v33, 16, v16
	v_lshrrev_b32_e32 v35, 16, v17
	s_waitcnt lgkmcnt(7)
	v_lshrrev_b32_e32 v40, 16, v26
	v_lshrrev_b32_e32 v72, 16, v27
	;; [unrolled: 3-line block ×8, first 2 shown]
	s_waitcnt lgkmcnt(0)
	v_lshrrev_b32_e32 v45, 16, v44
.LBB0_15:
	s_or_b32 exec_lo, exec_lo, s1
	s_and_saveexec_b32 s1, s0
	s_cbranch_execz .LBB0_17
; %bb.16:
	v_mul_f16_sdwa v37, v8, v35 dst_sel:DWORD dst_unused:UNUSED_PAD src0_sel:WORD_1 src1_sel:DWORD
	v_mul_f16_sdwa v34, v15, v45 dst_sel:DWORD dst_unused:UNUSED_PAD src0_sel:WORD_1 src1_sel:DWORD
	;; [unrolled: 1-line block ×5, first 2 shown]
	v_fmac_f16_e32 v37, v8, v17
	v_fmac_f16_e32 v34, v15, v44
	v_mul_f16_sdwa v17, v14, v65 dst_sel:DWORD dst_unused:UNUSED_PAD src0_sel:WORD_1 src1_sel:DWORD
	v_fma_f16 v15, v15, v45, -v38
	v_fma_f16 v38, v8, v35, -v39
	v_mul_f16_sdwa v8, v14, v32 dst_sel:DWORD dst_unused:UNUSED_PAD src0_sel:WORD_1 src1_sel:DWORD
	v_sub_f16_e32 v35, v37, v34
	v_fmac_f16_e32 v36, v9, v26
	v_fmac_f16_e32 v17, v14, v32
	v_mul_f16_sdwa v44, v9, v26 dst_sel:DWORD dst_unused:UNUSED_PAD src0_sel:WORD_1 src1_sel:DWORD
	v_mul_f16_sdwa v39, v10, v72 dst_sel:DWORD dst_unused:UNUSED_PAD src0_sel:WORD_1 src1_sel:DWORD
	v_add_f16_e32 v62, v15, v38
	v_mul_f16_e32 v75, 0xb964, v35
	v_mul_f16_sdwa v26, v13, v78 dst_sel:DWORD dst_unused:UNUSED_PAD src0_sel:WORD_1 src1_sel:DWORD
	v_sub_f16_e32 v32, v36, v17
	v_fma_f16 v8, v14, v65, -v8
	v_fma_f16 v40, v9, v40, -v44
	v_fmac_f16_e32 v39, v10, v27
	v_mul_f16_sdwa v27, v10, v27 dst_sel:DWORD dst_unused:UNUSED_PAD src0_sel:WORD_1 src1_sel:DWORD
	v_fmamk_f16 v45, v62, 0x39e9, v75
	v_fmac_f16_e32 v26, v13, v31
	v_mul_f16_sdwa v9, v13, v31 dst_sel:DWORD dst_unused:UNUSED_PAD src0_sel:WORD_1 src1_sel:DWORD
	v_mul_f16_e32 v81, 0xbbf7, v32
	v_add_f16_e32 v65, v8, v40
	v_fma_f16 v27, v10, v72, -v27
	v_mul_f16_sdwa v31, v11, v41 dst_sel:DWORD dst_unused:UNUSED_PAD src0_sel:WORD_1 src1_sel:DWORD
	v_mul_f16_sdwa v10, v12, v77 dst_sel:DWORD dst_unused:UNUSED_PAD src0_sel:WORD_1 src1_sel:DWORD
	v_sub_f16_e32 v14, v39, v26
	v_fma_f16 v9, v13, v78, -v9
	v_add_f16_e32 v13, v33, v45
	v_fmamk_f16 v44, v65, 0x2de8, v81
	v_fmac_f16_e32 v31, v11, v22
	v_fmac_f16_e32 v10, v12, v30
	v_mul_f16_sdwa v67, v12, v30 dst_sel:DWORD dst_unused:UNUSED_PAD src0_sel:WORD_1 src1_sel:DWORD
	v_mul_f16_sdwa v68, v11, v22 dst_sel:DWORD dst_unused:UNUSED_PAD src0_sel:WORD_1 src1_sel:DWORD
	v_mul_f16_e32 v84, 0xba62, v14
	v_add_f16_e32 v66, v9, v27
	v_add_f16_e32 v44, v44, v13
	v_mul_f16_sdwa v30, v0, v42 dst_sel:DWORD dst_unused:UNUSED_PAD src0_sel:WORD_1 src1_sel:DWORD
	v_mul_f16_sdwa v13, v7, v73 dst_sel:DWORD dst_unused:UNUSED_PAD src0_sel:WORD_1 src1_sel:DWORD
	v_sub_f16_e32 v22, v31, v10
	v_fma_f16 v12, v12, v77, -v67
	v_fma_f16 v41, v11, v41, -v68
	v_fmamk_f16 v45, v66, 0xb8d2, v84
	v_fmac_f16_e32 v30, v0, v23
	v_fmac_f16_e32 v13, v7, v29
	v_mul_f16_sdwa v29, v7, v29 dst_sel:DWORD dst_unused:UNUSED_PAD src0_sel:WORD_1 src1_sel:DWORD
	v_mul_f16_sdwa v23, v0, v23 dst_sel:DWORD dst_unused:UNUSED_PAD src0_sel:WORD_1 src1_sel:DWORD
	v_mul_f16_e32 v91, 0xb1e1, v22
	v_add_f16_e32 v72, v12, v41
	v_sub_f16_e32 v11, v30, v13
	v_fma_f16 v7, v7, v73, -v29
	v_fma_f16 v29, v0, v42, -v23
	v_add_f16_e32 v23, v45, v44
	v_fmamk_f16 v44, v72, 0xbbdd, v91
	v_mul_f16_sdwa v42, v1, v63 dst_sel:DWORD dst_unused:UNUSED_PAD src0_sel:WORD_1 src1_sel:DWORD
	v_mul_f16_sdwa v0, v6, v76 dst_sel:DWORD dst_unused:UNUSED_PAD src0_sel:WORD_1 src1_sel:DWORD
	;; [unrolled: 1-line block ×4, first 2 shown]
	v_add_f16_e32 v44, v44, v23
	v_fmac_f16_e32 v42, v1, v20
	v_fmac_f16_e32 v0, v6, v25
	v_mul_f16_sdwa v25, v2, v46 dst_sel:DWORD dst_unused:UNUSED_PAD src0_sel:WORD_1 src1_sel:DWORD
	v_mul_f16_sdwa v23, v5, v74 dst_sel:DWORD dst_unused:UNUSED_PAD src0_sel:WORD_1 src1_sel:DWORD
	v_mul_f16_e32 v89, 0x3836, v11
	v_add_f16_e32 v73, v7, v29
	v_sub_f16_e32 v20, v42, v0
	v_fma_f16 v6, v6, v76, -v45
	v_fma_f16 v45, v1, v63, -v68
	v_fmac_f16_e32 v25, v2, v21
	v_fmac_f16_e32 v23, v5, v24
	v_mul_f16_sdwa v24, v5, v24 dst_sel:DWORD dst_unused:UNUSED_PAD src0_sel:WORD_1 src1_sel:DWORD
	v_mul_f16_sdwa v21, v2, v21 dst_sel:DWORD dst_unused:UNUSED_PAD src0_sel:WORD_1 src1_sel:DWORD
	v_fmamk_f16 v67, v73, 0xbacd, v89
	v_mul_f16_e32 v92, 0x3bb2, v20
	v_add_f16_e32 v82, v6, v45
	v_sub_f16_e32 v1, v25, v23
	v_fma_f16 v5, v5, v74, -v24
	v_fma_f16 v46, v2, v46, -v21
	v_add_f16_e32 v2, v67, v44
	v_fmamk_f16 v21, v82, 0xb461, v92
	v_mul_f16_e32 v90, 0x3b29, v1
	v_sub_f16_e32 v86, v38, v15
	v_add_f16_e32 v68, v5, v46
	v_sub_f16_e32 v88, v40, v8
	v_add_f16_e32 v2, v21, v2
	v_add_f16_e32 v21, v34, v37
	v_mul_f16_e32 v100, 0xb964, v86
	v_fmamk_f16 v24, v68, 0x3722, v90
	v_mul_f16_e32 v94, 0xbbf7, v88
	v_sub_f16_e32 v76, v27, v9
	v_mul_f16_sdwa v63, v4, v71 dst_sel:DWORD dst_unused:UNUSED_PAD src0_sel:WORD_1 src1_sel:DWORD
	v_add_f16_e32 v44, v26, v39
	v_add_f16_e32 v69, v24, v2
	v_fma_f16 v2, v21, 0x39e9, -v100
	v_add_f16_e32 v24, v17, v36
	v_mul_f16_e32 v95, 0xba62, v76
	v_sub_f16_e32 v77, v41, v12
	v_mul_f16_sdwa v67, v3, v64 dst_sel:DWORD dst_unused:UNUSED_PAD src0_sel:WORD_1 src1_sel:DWORD
	v_add_f16_e32 v70, v16, v2
	v_fma_f16 v74, v24, 0x2de8, -v94
	v_fmac_f16_e32 v63, v4, v19
	v_mul_f16_sdwa v78, v4, v19 dst_sel:DWORD dst_unused:UNUSED_PAD src0_sel:WORD_1 src1_sel:DWORD
	v_add_f16_e32 v19, v10, v31
	v_mul_f16_e32 v97, 0xb1e1, v77
	v_add_f16_e32 v70, v74, v70
	v_fma_f16 v74, v44, 0xb8d2, -v95
	v_fmac_f16_e32 v67, v3, v18
	v_fma_f16 v71, v4, v71, -v78
	v_sub_f16_e32 v78, v29, v7
	v_mul_f16_sdwa v18, v3, v18 dst_sel:DWORD dst_unused:UNUSED_PAD src0_sel:WORD_1 src1_sel:DWORD
	v_add_f16_e32 v70, v74, v70
	v_fma_f16 v79, v19, 0xbbdd, -v97
	v_mul_f16_e32 v115, 0xbb29, v35
	v_sub_f16_e32 v2, v67, v63
	v_add_f16_e32 v4, v13, v30
	v_mul_f16_e32 v99, 0x3836, v78
	v_fma_f16 v74, v3, v64, -v18
	v_add_f16_e32 v3, v79, v70
	v_sub_f16_e32 v79, v45, v6
	v_fmamk_f16 v70, v62, 0x3722, v115
	v_mul_f16_e32 v116, 0xba62, v32
	v_mul_f16_e32 v96, 0x35c8, v2
	v_fma_f16 v64, v4, 0xbacd, -v99
	v_add_f16_e32 v83, v71, v74
	v_add_f16_e32 v18, v0, v42
	v_mul_f16_e32 v102, 0x3bb2, v79
	v_sub_f16_e32 v85, v46, v5
	v_add_f16_e32 v70, v33, v70
	v_fmamk_f16 v87, v65, 0xb8d2, v116
	v_mul_f16_e32 v110, 0x31e1, v14
	v_add_f16_e32 v3, v64, v3
	v_fma_f16 v80, v18, 0xb461, -v102
	v_add_f16_e32 v64, v23, v25
	v_mul_f16_e32 v101, 0x3b29, v85
	v_fmamk_f16 v93, v83, 0x3b76, v96
	v_add_f16_e32 v70, v87, v70
	v_fmamk_f16 v87, v66, 0xbbdd, v110
	v_mul_f16_e32 v111, 0x3bb2, v22
	v_add_f16_e32 v80, v80, v3
	v_fma_f16 v98, v64, 0x3722, -v101
	v_add_f16_e32 v3, v93, v69
	v_add_f16_e32 v70, v87, v70
	v_fmamk_f16 v93, v72, 0xb461, v111
	v_mul_f16_e32 v109, 0x3964, v11
	v_mul_f16_e32 v121, 0xbb29, v86
	v_add_f16_e32 v80, v98, v80
	v_sub_f16_e32 v87, v74, v71
	v_add_f16_e32 v70, v93, v70
	v_fmamk_f16 v93, v73, 0x39e9, v109
	v_mul_f16_e32 v107, 0xb5c8, v20
	v_fma_f16 v98, v21, 0x3722, -v121
	v_mul_f16_e32 v122, 0xba62, v88
	v_add_f16_e32 v69, v63, v67
	v_mul_f16_e32 v104, 0x35c8, v87
	v_add_f16_e32 v70, v93, v70
	v_fmamk_f16 v93, v82, 0x3b76, v107
	v_mul_f16_e32 v108, 0xbbf7, v1
	v_add_f16_e32 v98, v16, v98
	v_fma_f16 v103, v24, 0xb8d2, -v122
	v_mul_f16_e32 v112, 0x31e1, v76
	v_fma_f16 v105, v69, 0x3b76, -v104
	v_add_f16_e32 v93, v93, v70
	v_fmamk_f16 v106, v68, 0x2de8, v108
	v_add_f16_e32 v98, v103, v98
	v_fma_f16 v103, v44, 0xbbdd, -v112
	v_mul_f16_e32 v113, 0x3bb2, v77
	v_mul_f16_e32 v132, 0xbbf7, v35
	v_add_f16_e32 v70, v105, v80
	v_add_f16_e32 v80, v106, v93
	;; [unrolled: 1-line block ×3, first 2 shown]
	v_fma_f16 v98, v19, 0xb461, -v113
	v_mul_f16_e32 v120, 0x3964, v78
	v_fmamk_f16 v103, v62, 0x2de8, v132
	v_mul_f16_e32 v133, 0xb1e1, v32
	v_mul_f16_e32 v123, 0xb5c8, v79
	v_add_f16_e32 v93, v98, v93
	v_fma_f16 v98, v4, 0x39e9, -v120
	v_add_f16_e32 v103, v33, v103
	v_fmamk_f16 v105, v65, 0xbbdd, v133
	v_mul_f16_e32 v136, 0x3bb2, v14
	v_mul_f16_e32 v117, 0xbbf7, v85
	v_add_f16_e32 v93, v98, v93
	v_fma_f16 v98, v18, 0x3b76, -v123
	v_add_f16_e32 v103, v105, v103
	;; [unrolled: 6-line block ×3, first 2 shown]
	v_fmamk_f16 v105, v72, 0x3b76, v127
	v_mul_f16_e32 v128, 0xbb29, v11
	v_mul_f16_e32 v138, 0xbbf7, v86
	v_fmamk_f16 v106, v83, 0xbacd, v119
	v_add_f16_e32 v93, v98, v93
	v_add_f16_e32 v98, v105, v103
	v_fmamk_f16 v103, v73, 0x3722, v128
	v_mul_f16_e32 v134, 0xb836, v20
	v_fma_f16 v105, v21, 0x2de8, -v138
	v_mul_f16_e32 v139, 0xb1e1, v88
	v_add_f16_e32 v80, v106, v80
	v_add_f16_e32 v98, v103, v98
	v_fmamk_f16 v103, v82, 0xbacd, v134
	v_mul_f16_e32 v135, 0x3a62, v1
	v_add_f16_e32 v105, v16, v105
	v_fma_f16 v106, v24, 0xbbdd, -v139
	v_mul_f16_e32 v140, 0x3bb2, v76
	v_mul_f16_e32 v118, 0xb836, v87
	v_add_f16_e32 v98, v103, v98
	v_fmamk_f16 v103, v68, 0xb8d2, v135
	v_add_f16_e32 v105, v106, v105
	v_fma_f16 v106, v44, 0xb461, -v140
	v_mul_f16_e32 v129, 0x35c8, v77
	v_mul_f16_e32 v155, 0xbbb2, v35
	v_fma_f16 v114, v69, 0xbacd, -v118
	v_add_f16_e32 v98, v103, v98
	v_add_f16_e32 v103, v106, v105
	v_fma_f16 v105, v19, 0x3b76, -v129
	v_mul_f16_e32 v141, 0xbb29, v78
	v_fmamk_f16 v106, v62, 0xb461, v155
	v_mul_f16_e32 v156, 0x3836, v32
	v_add_f16_e32 v93, v114, v93
	v_add_f16_e32 v103, v105, v103
	v_fma_f16 v105, v4, 0x3722, -v141
	v_mul_f16_e32 v130, 0xb836, v79
	v_add_f16_e32 v106, v33, v106
	v_fmamk_f16 v114, v65, 0xbacd, v156
	v_mul_f16_e32 v157, 0x3964, v14
	v_add_f16_e32 v103, v105, v103
	v_fma_f16 v105, v18, 0xbacd, -v130
	v_mul_f16_e32 v131, 0x3a62, v85
	v_add_f16_e32 v106, v114, v106
	v_fmamk_f16 v114, v66, 0x39e9, v157
	v_mul_f16_e32 v158, 0xbb29, v22
	v_mul_f16_e32 v142, 0x3964, v2
	v_add_f16_e32 v103, v105, v103
	v_fma_f16 v105, v64, 0xb8d2, -v131
	v_add_f16_e32 v106, v114, v106
	v_fmamk_f16 v114, v72, 0x3722, v158
	v_mul_f16_e32 v159, 0xb1e1, v11
	v_mul_f16_e32 v160, 0xbbb2, v86
	v_fmamk_f16 v124, v83, 0x39e9, v142
	v_add_f16_e32 v103, v105, v103
	v_add_f16_e32 v105, v114, v106
	v_fmamk_f16 v106, v73, 0xbbdd, v159
	v_mul_f16_e32 v161, 0x3bf7, v20
	v_fma_f16 v114, v21, 0xb461, -v160
	v_mul_f16_e32 v149, 0x3836, v88
	v_add_f16_e32 v98, v124, v98
	v_add_f16_e32 v105, v106, v105
	v_fmamk_f16 v106, v82, 0x2de8, v161
	v_mul_f16_e32 v147, 0xb5c8, v1
	v_add_f16_e32 v114, v16, v114
	v_fma_f16 v124, v24, 0xbacd, -v149
	v_mul_f16_e32 v150, 0x3964, v76
	v_mul_f16_e32 v143, 0x3964, v87
	v_add_f16_e32 v105, v106, v105
	v_fmamk_f16 v106, v68, 0x3b76, v147
	v_add_f16_e32 v114, v124, v114
	v_fma_f16 v124, v44, 0x39e9, -v150
	v_mul_f16_e32 v151, 0xbb29, v77
	v_mul_f16_e32 v148, 0xba62, v35
	v_fma_f16 v125, v69, 0x39e9, -v143
	v_add_f16_e32 v105, v106, v105
	v_add_f16_e32 v106, v124, v114
	v_fma_f16 v114, v19, 0x3722, -v151
	v_mul_f16_e32 v152, 0xb1e1, v78
	v_fmamk_f16 v124, v62, 0xb8d2, v148
	v_mul_f16_e32 v163, 0x3bb2, v32
	v_add_f16_e32 v103, v125, v103
	v_add_f16_e32 v106, v114, v106
	v_fma_f16 v114, v4, 0xbbdd, -v152
	v_mul_f16_e32 v153, 0x3bf7, v79
	v_add_f16_e32 v124, v33, v124
	v_fmamk_f16 v125, v65, 0xb461, v163
	v_mul_f16_e32 v164, 0xb5c8, v14
	v_add_f16_e32 v106, v114, v106
	v_fma_f16 v114, v18, 0x2de8, -v153
	v_mul_f16_e32 v154, 0xb5c8, v85
	v_add_f16_e32 v124, v125, v124
	v_fmamk_f16 v125, v66, 0x3b76, v164
	v_mul_f16_e32 v165, 0xb836, v22
	v_mul_f16_e32 v162, 0xba62, v2
	v_add_f16_e32 v106, v114, v106
	v_fma_f16 v114, v64, 0x3b76, -v154
	v_add_f16_e32 v124, v125, v124
	;; [unrolled: 48-line block ×3, first 2 shown]
	v_fmamk_f16 v137, v72, 0xb8d2, v179
	v_mul_f16_e32 v180, 0xb5c8, v11
	v_mul_f16_e32 v181, 0xb836, v86
	v_fmamk_f16 v144, v83, 0x3722, v175
	v_add_f16_e32 v124, v125, v124
	v_add_f16_e32 v125, v137, v126
	v_fmamk_f16 v126, v73, 0x3b76, v180
	v_mul_f16_e32 v182, 0xb1e1, v20
	v_mul_f16_e32 v183, 0x3b29, v87
	v_fma_f16 v137, v21, 0xbacd, -v181
	v_mul_f16_e32 v184, 0x3b29, v88
	v_add_f16_e32 v114, v144, v114
	v_add_f16_e32 v125, v126, v125
	v_fmamk_f16 v126, v82, 0xbbdd, v182
	v_mul_f16_e32 v185, 0x3964, v1
	v_add_f16_e32 v137, v16, v137
	v_fma_f16 v144, v24, 0x3722, -v184
	v_mul_f16_e32 v186, 0xbbf7, v76
	v_fma_f16 v187, v69, 0x3722, -v183
	v_add_f16_e32 v125, v126, v125
	v_fmamk_f16 v126, v68, 0x39e9, v185
	v_add_f16_e32 v137, v144, v137
	v_fma_f16 v144, v44, 0x2de8, -v186
	v_mul_f16_e32 v188, 0x3a62, v77
	v_add_f16_e32 v124, v187, v124
	v_mul_f16_e32 v187, 0xb1e1, v35
	v_add_f16_e32 v125, v126, v125
	v_add_f16_e32 v126, v144, v137
	v_fma_f16 v137, v19, 0xb8d2, -v188
	v_mul_f16_e32 v189, 0xb5c8, v78
	v_fmamk_f16 v144, v62, 0xbbdd, v187
	v_mul_f16_e32 v191, 0x35c8, v32
	v_mul_f16_e32 v190, 0xbbb2, v2
	v_add_f16_e32 v126, v137, v126
	v_fma_f16 v137, v4, 0x3b76, -v189
	v_mul_f16_e32 v192, 0xb1e1, v79
	v_add_f16_e32 v144, v33, v144
	v_fmamk_f16 v193, v65, 0x3b76, v191
	v_mul_f16_e32 v194, 0xb836, v14
	v_fma_f16 v145, v62, 0xbacd, -v145
	v_fma_f16 v155, v62, 0xb461, -v155
	v_add_f16_e32 v126, v137, v126
	v_fma_f16 v137, v18, 0xbbdd, -v192
	v_mul_f16_e32 v195, 0x3964, v85
	v_add_f16_e32 v144, v193, v144
	v_fmamk_f16 v193, v66, 0xbacd, v194
	v_mul_f16_e32 v196, 0x3964, v22
	v_fmamk_f16 v197, v83, 0xb461, v190
	v_add_f16_e32 v145, v33, v145
	v_fma_f16 v146, v65, 0x3722, -v146
	v_add_f16_e32 v155, v33, v155
	v_fma_f16 v156, v65, 0xbacd, -v156
	;; [unrolled: 2-line block ×3, first 2 shown]
	v_add_f16_e32 v144, v193, v144
	v_fmamk_f16 v193, v72, 0x39e9, v196
	v_mul_f16_e32 v198, 0xba62, v11
	v_add_f16_e32 v125, v197, v125
	v_mul_f16_e32 v197, 0xb1e1, v86
	v_add_f16_e32 v146, v146, v145
	v_fma_f16 v177, v66, 0x2de8, -v177
	v_fma_f16 v75, v62, 0x39e9, -v75
	v_add_f16_e32 v155, v156, v155
	v_fma_f16 v156, v66, 0x39e9, -v157
	v_add_f16_e32 v126, v137, v126
	v_add_f16_e32 v137, v193, v144
	v_fmamk_f16 v144, v73, 0xb8d2, v198
	v_mul_f16_e32 v193, 0x3b29, v20
	v_fma_f16 v200, v21, 0xbbdd, -v197
	v_mul_f16_e32 v201, 0x35c8, v88
	v_add_f16_e32 v146, v177, v146
	v_fma_f16 v177, v72, 0xb8d2, -v179
	v_add_f16_e32 v75, v33, v75
	v_fma_f16 v81, v65, 0x2de8, -v81
	;; [unrolled: 2-line block ×3, first 2 shown]
	v_fmac_f16_e32 v160, 0xb461, v21
	v_add_f16_e32 v137, v144, v137
	v_fmamk_f16 v144, v82, 0x3722, v193
	v_mul_f16_e32 v202, 0xbbb2, v1
	v_add_f16_e32 v200, v16, v200
	v_fma_f16 v203, v24, 0x3b76, -v201
	v_mul_f16_e32 v204, 0xb836, v76
	v_fmac_f16_e32 v181, 0xbacd, v21
	v_add_f16_e32 v146, v177, v146
	v_fma_f16 v177, v73, 0x3b76, -v180
	v_add_f16_e32 v75, v81, v75
	v_fma_f16 v81, v66, 0xb8d2, -v84
	;; [unrolled: 2-line block ×3, first 2 shown]
	v_add_f16_e32 v159, v16, v160
	v_fmac_f16_e32 v149, 0xbacd, v24
	v_add_f16_e32 v137, v144, v137
	v_fmamk_f16 v144, v68, 0xb461, v202
	v_add_f16_e32 v200, v203, v200
	v_fma_f16 v203, v44, 0xbacd, -v204
	v_mul_f16_e32 v206, 0x3964, v77
	v_add_f16_e32 v37, v16, v37
	v_add_f16_e32 v38, v38, v33
	;; [unrolled: 1-line block ×3, first 2 shown]
	v_fmac_f16_e32 v184, 0x3722, v24
	v_add_f16_e32 v146, v177, v146
	v_fma_f16 v177, v82, 0xbbdd, -v182
	v_add_f16_e32 v75, v81, v75
	v_fma_f16 v81, v72, 0xbbdd, -v91
	v_fmac_f16_e32 v100, 0x39e9, v21
	v_fma_f16 v132, v62, 0x2de8, -v132
	v_add_f16_e32 v149, v149, v159
	v_fmac_f16_e32 v150, 0x39e9, v44
	v_add_f16_e32 v137, v144, v137
	v_fma_f16 v144, v62, 0xbbdd, -v187
	v_add_f16_e32 v187, v203, v200
	v_fma_f16 v200, v19, 0x39e9, -v206
	v_mul_f16_e32 v203, 0xba62, v78
	v_add_f16_e32 v36, v36, v37
	v_add_f16_e32 v37, v40, v38
	;; [unrolled: 1-line block ×4, first 2 shown]
	v_fma_f16 v181, v68, 0x39e9, -v185
	v_fma_f16 v148, v62, 0xb8d2, -v148
	;; [unrolled: 1-line block ×3, first 2 shown]
	v_add_f16_e32 v75, v81, v75
	v_fma_f16 v81, v73, 0xbacd, -v89
	v_add_f16_e32 v89, v16, v100
	v_fmac_f16_e32 v94, 0x2de8, v24
	v_mul_f16_e32 v62, 0x3b76, v62
	v_add_f16_e32 v132, v33, v132
	v_fma_f16 v133, v65, 0xbbdd, -v133
	v_add_f16_e32 v149, v150, v149
	v_fmac_f16_e32 v151, 0x3722, v19
	v_add_f16_e32 v144, v33, v144
	v_fma_f16 v191, v65, 0x3b76, -v191
	v_add_f16_e32 v187, v200, v187
	v_fma_f16 v200, v4, 0xb8d2, -v203
	v_mul_f16_e32 v207, 0x3b29, v79
	v_add_f16_e32 v36, v39, v36
	v_add_f16_e32 v27, v27, v37
	;; [unrolled: 1-line block ×4, first 2 shown]
	v_fma_f16 v163, v65, 0xb461, -v163
	v_fma_f16 v116, v65, 0xb8d2, -v116
	v_add_f16_e32 v75, v81, v75
	v_fma_f16 v81, v82, 0xb461, -v92
	v_add_f16_e32 v89, v94, v89
	v_fmac_f16_e32 v95, 0xb8d2, v44
	v_fmamk_f16 v92, v35, 0x35c8, v62
	v_mul_f16_e32 v65, 0x39e9, v65
	v_add_f16_e32 v132, v133, v132
	v_fma_f16 v133, v66, 0xb461, -v136
	v_add_f16_e32 v136, v151, v149
	v_fmac_f16_e32 v152, 0xbbdd, v4
	v_fmac_f16_e32 v138, 0x2de8, v21
	v_add_f16_e32 v144, v191, v144
	v_fma_f16 v191, v66, 0xbacd, -v194
	v_add_f16_e32 v187, v200, v187
	v_fma_f16 v194, v18, 0x3722, -v207
	v_mul_f16_e32 v200, 0xbbb2, v85
	v_add_f16_e32 v31, v31, v36
	v_add_f16_e32 v27, v41, v27
	;; [unrolled: 1-line block ×3, first 2 shown]
	v_fma_f16 v164, v66, 0x3b76, -v164
	v_fma_f16 v110, v66, 0xbbdd, -v110
	v_add_f16_e32 v75, v81, v75
	v_add_f16_e32 v81, v95, v89
	;; [unrolled: 1-line block ×3, first 2 shown]
	v_fmamk_f16 v92, v32, 0x3964, v65
	v_mul_f16_e32 v66, 0x3722, v66
	v_add_f16_e32 v132, v133, v132
	v_fma_f16 v127, v72, 0x3b76, -v127
	v_add_f16_e32 v133, v152, v136
	v_fmac_f16_e32 v153, 0x2de8, v18
	v_add_f16_e32 v136, v16, v138
	v_fmac_f16_e32 v139, 0xbbdd, v24
	v_add_f16_e32 v144, v191, v144
	v_fma_f16 v191, v72, 0x39e9, -v196
	v_add_f16_e32 v187, v194, v187
	v_fma_f16 v194, v64, 0xb461, -v200
	v_mul_f16_e32 v196, 0x3bf7, v87
	v_fmac_f16_e32 v197, 0xbbdd, v21
	v_add_f16_e32 v30, v30, v31
	v_add_f16_e32 v27, v29, v27
	;; [unrolled: 1-line block ×3, first 2 shown]
	v_fma_f16 v164, v72, 0xbacd, -v165
	v_fma_f16 v111, v72, 0xb461, -v111
	;; [unrolled: 1-line block ×3, first 2 shown]
	v_add_f16_e32 v89, v92, v89
	v_fmamk_f16 v92, v14, 0x3b29, v66
	v_mul_f16_e32 v72, 0x2de8, v72
	v_add_f16_e32 v127, v127, v132
	v_add_f16_e32 v132, v153, v133
	;; [unrolled: 1-line block ×3, first 2 shown]
	v_fmac_f16_e32 v140, 0xb461, v44
	v_add_f16_e32 v144, v191, v144
	v_fma_f16 v191, v73, 0xb8d2, -v198
	v_add_f16_e32 v187, v194, v187
	v_fma_f16 v194, v69, 0x2de8, -v196
	v_add_f16_e32 v197, v16, v197
	v_fmac_f16_e32 v201, 0x3b76, v24
	v_add_f16_e32 v30, v42, v30
	v_add_f16_e32 v27, v45, v27
	;; [unrolled: 1-line block ×3, first 2 shown]
	v_fma_f16 v164, v73, 0x2de8, -v166
	v_fma_f16 v128, v73, 0x3722, -v128
	;; [unrolled: 1-line block ×3, first 2 shown]
	v_add_f16_e32 v75, v90, v75
	v_add_f16_e32 v89, v92, v89
	v_fmamk_f16 v90, v22, 0x3bf7, v72
	v_mul_f16_e32 v73, 0xb461, v73
	v_add_f16_e32 v133, v140, v133
	v_fmac_f16_e32 v129, 0x3b76, v19
	v_add_f16_e32 v191, v191, v144
	v_add_f16_e32 v144, v194, v187
	;; [unrolled: 1-line block ×3, first 2 shown]
	v_fmac_f16_e32 v204, 0xbacd, v44
	v_add_f16_e32 v25, v25, v30
	v_add_f16_e32 v27, v46, v27
	v_fma_f16 v193, v82, 0x3722, -v193
	v_add_f16_e32 v163, v164, v163
	v_fma_f16 v164, v82, 0x39e9, -v168
	;; [unrolled: 2-line block ×4, first 2 shown]
	v_fma_f16 v107, v82, 0x3b76, -v107
	v_add_f16_e32 v89, v90, v89
	v_fmamk_f16 v90, v11, 0x3bb2, v73
	v_mul_f16_e32 v82, 0xb8d2, v82
	v_mul_f16_e32 v86, 0xb5c8, v86
	v_add_f16_e32 v129, v129, v133
	v_fmac_f16_e32 v141, 0x3722, v4
	v_add_f16_e32 v187, v204, v187
	v_fmac_f16_e32 v206, 0x39e9, v19
	v_add_f16_e32 v25, v67, v25
	v_add_f16_e32 v27, v74, v27
	v_fma_f16 v92, v83, 0x3b76, -v96
	v_add_f16_e32 v89, v90, v89
	v_fmamk_f16 v90, v20, 0x3a62, v82
	v_fmamk_f16 v94, v21, 0x3b76, v86
	v_mul_f16_e32 v88, 0xb964, v88
	v_add_f16_e32 v115, v33, v115
	v_add_f16_e32 v129, v141, v129
	v_fmac_f16_e32 v130, 0xbacd, v18
	v_fmac_f16_e32 v121, 0x3722, v21
	;; [unrolled: 1-line block ×3, first 2 shown]
	v_add_f16_e32 v187, v206, v187
	v_fmac_f16_e32 v203, 0xb8d2, v4
	v_add_f16_e32 v25, v63, v25
	v_add_f16_e32 v27, v71, v27
	;; [unrolled: 1-line block ×5, first 2 shown]
	v_fmamk_f16 v92, v24, 0x39e9, v88
	v_mul_f16_e32 v76, 0xbb29, v76
	v_add_f16_e32 v115, v116, v115
	v_add_f16_e32 v116, v130, v129
	v_fmac_f16_e32 v131, 0xb8d2, v64
	v_add_f16_e32 v121, v16, v121
	v_fmac_f16_e32 v122, 0xb8d2, v24
	v_add_f16_e32 v167, v16, v167
	v_fmac_f16_e32 v170, 0xb461, v24
	v_fmac_f16_e32 v62, 0xb5c8, v35
	v_fma_f16 v21, v21, 0x3b76, -v86
	v_add_f16_e32 v179, v203, v187
	v_fmac_f16_e32 v207, 0x3722, v18
	v_add_f16_e32 v23, v23, v25
	v_add_f16_e32 v5, v5, v27
	;; [unrolled: 1-line block ×3, first 2 shown]
	v_fmamk_f16 v38, v44, 0x3722, v76
	v_mul_f16_e32 v40, 0xbbf7, v77
	v_add_f16_e32 v110, v110, v115
	v_add_f16_e32 v115, v131, v116
	;; [unrolled: 1-line block ×3, first 2 shown]
	v_fmac_f16_e32 v112, 0xbbdd, v44
	v_add_f16_e32 v167, v170, v167
	v_fmac_f16_e32 v172, 0x3b76, v44
	v_add_f16_e32 v33, v33, v62
	v_fmac_f16_e32 v65, 0xb964, v32
	v_fmac_f16_e32 v66, 0xbb29, v14
	v_add_f16_e32 v14, v16, v21
	v_fma_f16 v16, v24, 0x39e9, -v88
	v_add_f16_e32 v179, v207, v179
	v_fmac_f16_e32 v200, 0xb461, v64
	v_fmac_f16_e32 v186, 0x2de8, v44
	v_add_f16_e32 v0, v0, v23
	v_add_f16_e32 v5, v6, v5
	v_fmac_f16_e32 v97, 0xbbdd, v19
	v_add_f16_e32 v37, v38, v90
	v_fmamk_f16 v38, v19, 0x2de8, v40
	v_mul_f16_e32 v39, 0xbbb2, v78
	v_add_f16_e32 v110, v111, v110
	v_add_f16_e32 v112, v112, v116
	v_fmac_f16_e32 v113, 0xb461, v19
	v_add_f16_e32 v166, v172, v167
	v_fmac_f16_e32 v173, 0xbacd, v19
	v_add_f16_e32 v25, v65, v33
	v_add_f16_e32 v14, v16, v14
	v_fma_f16 v16, v44, 0x3722, -v76
	v_add_f16_e32 v179, v200, v179
	v_fmac_f16_e32 v196, 0x2de8, v69
	v_add_f16_e32 v180, v186, v180
	v_fmac_f16_e32 v188, 0xb8d2, v19
	v_add_f16_e32 v0, v13, v0
	v_add_f16_e32 v5, v7, v5
	;; [unrolled: 1-line block ×3, first 2 shown]
	v_fmac_f16_e32 v99, 0xbacd, v4
	v_add_f16_e32 v37, v38, v37
	v_fmamk_f16 v38, v4, 0xb461, v39
	v_mul_f16_e32 v29, 0xba62, v79
	v_add_f16_e32 v109, v109, v110
	v_add_f16_e32 v110, v113, v112
	v_fmac_f16_e32 v120, 0x39e9, v4
	v_add_f16_e32 v166, v173, v166
	v_fmac_f16_e32 v174, 0x2de8, v4
	;; [unrolled: 2-line block ×3, first 2 shown]
	v_fmac_f16_e32 v73, 0xbbb2, v11
	v_add_f16_e32 v7, v16, v14
	v_fma_f16 v11, v19, 0x2de8, -v40
	v_mul_f16_e32 v199, 0xbbb2, v87
	v_add_f16_e32 v146, v196, v179
	v_add_f16_e32 v179, v188, v180
	v_fmac_f16_e32 v189, 0x3b76, v4
	v_add_f16_e32 v0, v10, v0
	v_add_f16_e32 v5, v12, v5
	;; [unrolled: 1-line block ×3, first 2 shown]
	v_fma_f16 v193, v68, 0xb461, -v202
	v_add_f16_e32 v163, v164, v163
	v_fma_f16 v164, v68, 0xbbdd, -v171
	v_fma_f16 v147, v68, 0x3b76, -v147
	v_add_f16_e32 v127, v128, v127
	v_fma_f16 v128, v68, 0xb8d2, -v135
	v_fma_f16 v108, v68, 0x2de8, -v108
	v_add_f16_e32 v81, v99, v81
	v_fmac_f16_e32 v102, 0xb461, v18
	v_mul_f16_e32 v68, 0xbacd, v68
	v_add_f16_e32 v37, v38, v37
	v_fmamk_f16 v38, v18, 0xb8d2, v29
	v_mul_f16_e32 v41, 0xb836, v85
	v_add_f16_e32 v84, v120, v110
	v_fmac_f16_e32 v123, 0x3b76, v18
	v_add_f16_e32 v157, v174, v166
	v_fmac_f16_e32 v176, 0x39e9, v18
	v_add_f16_e32 v6, v72, v6
	v_add_f16_e32 v7, v11, v7
	v_fma_f16 v4, v4, 0xb461, -v39
	v_fma_f16 v205, v69, 0xb461, -v199
	;; [unrolled: 1-line block ×3, first 2 shown]
	v_add_f16_e32 v179, v189, v179
	v_fmac_f16_e32 v192, 0xbbdd, v18
	v_add_f16_e32 v0, v26, v0
	v_add_f16_e32 v5, v9, v5
	v_add_f16_e32 v81, v102, v81
	v_fmac_f16_e32 v101, 0x3722, v64
	v_fmamk_f16 v77, v1, 0x3836, v68
	v_mul_f16_e32 v31, 0xbbdd, v83
	v_add_f16_e32 v30, v38, v37
	v_fmamk_f16 v37, v64, 0xbacd, v41
	v_mul_f16_e32 v35, 0xb1e1, v87
	v_add_f16_e32 v107, v107, v109
	v_add_f16_e32 v84, v123, v84
	v_fmac_f16_e32 v117, 0x2de8, v64
	v_add_f16_e32 v157, v176, v157
	v_fmac_f16_e32 v178, 0xbbdd, v64
	;; [unrolled: 2-line block ×4, first 2 shown]
	v_fmac_f16_e32 v68, 0xb836, v1
	v_add_f16_e32 v1, v4, v7
	v_fma_f16 v4, v18, 0xb8d2, -v29
	v_add_f16_e32 v126, v205, v126
	v_mul_f16_e32 v205, 0x3bf7, v2
	v_add_f16_e32 v148, v180, v177
	v_add_f16_e32 v177, v192, v179
	v_fmac_f16_e32 v195, 0x39e9, v64
	v_add_f16_e32 v0, v17, v0
	v_add_f16_e32 v5, v8, v5
	v_add_f16_e32 v81, v101, v81
	v_fmac_f16_e32 v104, 0x3b76, v69
	v_add_f16_e32 v36, v77, v89
	v_fmamk_f16 v42, v2, 0x31e1, v31
	v_add_f16_e32 v30, v37, v30
	v_fmamk_f16 v32, v69, 0xbbdd, v35
	v_add_f16_e32 v127, v128, v127
	v_fma_f16 v128, v83, 0x39e9, -v142
	v_fmac_f16_e32 v143, 0x39e9, v69
	v_add_f16_e32 v107, v108, v107
	v_fma_f16 v108, v83, 0xbacd, -v119
	v_add_f16_e32 v84, v117, v84
	v_fmac_f16_e32 v118, 0xbacd, v69
	v_add_f16_e32 v163, v164, v163
	v_fma_f16 v164, v83, 0x3722, -v175
	v_add_f16_e32 v157, v178, v157
	;; [unrolled: 4-line block ×3, first 2 shown]
	v_fmac_f16_e32 v169, 0xb8d2, v69
	v_add_f16_e32 v6, v82, v6
	v_fmac_f16_e32 v31, 0xb1e1, v2
	v_add_f16_e32 v1, v4, v1
	v_fma_f16 v2, v64, 0xbacd, -v41
	v_add_f16_e32 v191, v193, v191
	v_fma_f16 v193, v83, 0x2de8, -v205
	v_add_f16_e32 v165, v195, v177
	v_fmac_f16_e32 v199, 0xb461, v69
	v_add_f16_e32 v0, v34, v0
	v_add_f16_e32 v4, v15, v5
	v_fmamk_f16 v208, v83, 0x2de8, v205
	v_add_f16_e32 v81, v104, v81
	v_add_f16_e32 v36, v42, v36
	;; [unrolled: 1-line block ×13, first 2 shown]
	v_fma_f16 v2, v69, 0xbbdd, -v35
	v_add_f16_e32 v145, v193, v191
	v_add_f16_e32 v165, v199, v165
	v_pack_b32_f16 v0, v0, v4
	v_add_f16_e32 v137, v208, v137
	v_pack_b32_f16 v4, v5, v36
	v_pack_b32_f16 v5, v81, v75
	;; [unrolled: 1-line block ×6, first 2 shown]
	v_add_nc_u32_e32 v11, 0x400, v43
	v_add_f16_e32 v6, v31, v6
	v_add_f16_e32 v1, v2, v1
	ds_write_b32 v50, v0
	ds_write2_b32 v43, v4, v5 offset0:52 offset1:104
	ds_write2_b32 v43, v7, v8 offset0:156 offset1:208
	;; [unrolled: 1-line block ×3, first 2 shown]
	v_pack_b32_f16 v0, v165, v148
	v_pack_b32_f16 v2, v146, v145
	;; [unrolled: 1-line block ×4, first 2 shown]
	v_add_nc_u32_e32 v7, 0x600, v43
	v_pack_b32_f16 v8, v124, v114
	v_pack_b32_f16 v9, v106, v105
	v_add_nc_u32_e32 v10, 0x800, v43
	v_pack_b32_f16 v12, v103, v98
	v_pack_b32_f16 v13, v93, v80
	;; [unrolled: 1-line block ×4, first 2 shown]
	v_add_nc_u32_e32 v6, 0xc00, v43
	ds_write2_b32 v11, v0, v2 offset0:108 offset1:160
	ds_write2_b32 v7, v4, v5 offset0:84 offset1:136
	;; [unrolled: 1-line block ×5, first 2 shown]
.LBB0_17:
	s_or_b32 exec_lo, exec_lo, s1
	s_waitcnt lgkmcnt(0)
	s_barrier
	buffer_gl0_inv
	ds_read2_b32 v[0:1], v50 offset1:68
	v_add_nc_u32_e32 v2, 0x200, v50
	s_mov_b32 s6, 0x1288b013
	s_mov_b32 s7, 0x3f5288b0
	s_mul_i32 s3, s8, 0x110
	ds_read2_b32 v[2:3], v2 offset0:8 offset1:144
	s_waitcnt lgkmcnt(1)
	v_lshrrev_b32_e32 v4, 16, v0
	v_mul_f16_sdwa v5, v60, v0 dst_sel:DWORD dst_unused:UNUSED_PAD src0_sel:WORD_1 src1_sel:DWORD
	v_lshrrev_b32_e32 v6, 16, v1
	v_mul_f16_sdwa v7, v61, v1 dst_sel:DWORD dst_unused:UNUSED_PAD src0_sel:WORD_1 src1_sel:DWORD
	v_mul_f16_sdwa v8, v60, v4 dst_sel:DWORD dst_unused:UNUSED_PAD src0_sel:WORD_1 src1_sel:DWORD
	v_fma_f16 v5, v60, v4, -v5
	v_mul_f16_sdwa v12, v61, v6 dst_sel:DWORD dst_unused:UNUSED_PAD src0_sel:WORD_1 src1_sel:DWORD
	v_fma_f16 v4, v61, v6, -v7
	s_waitcnt lgkmcnt(0)
	v_lshrrev_b32_e32 v19, 16, v2
	v_fmac_f16_e32 v8, v60, v0
	v_cvt_f32_f16_e32 v5, v5
	v_fmac_f16_e32 v12, v61, v1
	v_cvt_f32_f16_e32 v0, v4
	v_mul_f16_sdwa v14, v59, v19 dst_sel:DWORD dst_unused:UNUSED_PAD src0_sel:WORD_1 src1_sel:DWORD
	v_cvt_f32_f16_e32 v10, v8
	v_cvt_f64_f32_e32 v[4:5], v5
	v_cvt_f32_f16_e32 v12, v12
	v_cvt_f64_f32_e32 v[0:1], v0
	v_mad_u64_u32 v[6:7], null, s10, v28, 0
	v_cvt_f64_f32_e32 v[10:11], v10
	v_mad_u64_u32 v[8:9], null, s8, v58, 0
	v_cvt_f64_f32_e32 v[12:13], v12
	v_fmac_f16_e32 v14, v59, v2
	v_mul_f16_sdwa v2, v59, v2 dst_sel:DWORD dst_unused:UNUSED_PAD src0_sel:WORD_1 src1_sel:DWORD
	v_cvt_f32_f16_e32 v16, v14
	v_mad_u64_u32 v[14:15], null, s11, v28, v[7:8]
	v_fma_f16 v2, v59, v19, -v2
	v_cvt_f64_f32_e32 v[15:16], v16
	v_mul_f64 v[4:5], v[4:5], s[6:7]
	v_mov_b32_e32 v7, v14
	v_mul_f64 v[0:1], v[0:1], s[6:7]
	v_cvt_f32_f16_e32 v2, v2
	v_mad_u64_u32 v[17:18], null, s9, v58, v[9:10]
	v_mul_f64 v[10:11], v[10:11], s[6:7]
	v_lshlrev_b64 v[6:7], 2, v[6:7]
	v_mul_f64 v[12:13], v[12:13], s[6:7]
	v_mov_b32_e32 v9, v17
	v_add_co_u32 v14, vcc_lo, s4, v6
	v_add_co_ci_u32_e32 v17, vcc_lo, s5, v7, vcc_lo
	v_lshlrev_b64 v[8:9], 2, v[8:9]
	v_mul_f64 v[6:7], v[15:16], s[6:7]
	v_and_or_b32 v4, 0x1ff, v5, v4
	v_bfe_u32 v16, v5, 20, 11
	v_and_or_b32 v0, 0x1ff, v1, v0
	v_lshrrev_b32_e32 v15, 8, v5
	v_lshrrev_b32_e32 v18, 8, v1
	v_cmp_ne_u32_e32 vcc_lo, 0, v4
	v_sub_nc_u32_e32 v22, 0x3f1, v16
	v_and_or_b32 v10, 0x1ff, v11, v10
	v_lshrrev_b32_e32 v20, 8, v11
	v_bfe_u32 v21, v11, 20, 11
	v_cndmask_b32_e64 v4, 0, 1, vcc_lo
	v_cmp_ne_u32_e32 vcc_lo, 0, v0
	v_and_or_b32 v12, 0x1ff, v13, v12
	v_bfe_u32 v24, v13, 20, 11
	v_sub_nc_u32_e32 v26, 0x3f1, v21
	v_lshrrev_b32_e32 v23, 8, v13
	v_cndmask_b32_e64 v0, 0, 1, vcc_lo
	v_cmp_ne_u32_e32 vcc_lo, 0, v10
	v_and_or_b32 v4, 0xffe, v15, v4
	v_med3_i32 v15, v22, 0, 13
	v_add_nc_u32_e32 v22, 0xfffffc10, v24
	v_and_or_b32 v0, 0xffe, v18, v0
	v_cndmask_b32_e64 v10, 0, 1, vcc_lo
	v_cmp_ne_u32_e32 vcc_lo, 0, v12
	v_med3_i32 v18, v26, 0, 13
	v_or_b32_e32 v26, 0x1000, v4
	v_add_nc_u32_e32 v16, 0xfffffc10, v16
	v_and_or_b32 v10, 0xffe, v20, v10
	v_cndmask_b32_e64 v12, 0, 1, vcc_lo
	v_sub_nc_u32_e32 v20, 0x3f1, v24
	v_cmp_ne_u32_e32 vcc_lo, 0, v4
	v_lshrrev_b32_e32 v28, v15, v26
	v_or_b32_e32 v24, 0x1000, v10
	v_and_or_b32 v12, 0xffe, v23, v12
	v_lshl_or_b32 v27, v16, 12, v4
	v_cndmask_b32_e64 v4, 0, 1, vcc_lo
	v_lshlrev_b32_e32 v15, v15, v28
	v_lshrrev_b32_e32 v23, v18, v24
	v_add_nc_u32_e32 v21, 0xfffffc10, v21
	v_med3_i32 v20, v20, 0, 13
	v_or_b32_e32 v29, 0x1000, v12
	v_bfe_u32 v19, v1, 20, 11
	v_lshlrev_b32_e32 v18, v18, v23
	v_lshl_or_b32 v31, v21, 12, v10
	v_lshrrev_b32_e32 v11, 16, v11
	v_lshrrev_b32_e32 v32, v20, v29
	v_sub_nc_u32_e32 v25, 0x3f1, v19
	v_cmp_ne_u32_e32 vcc_lo, v18, v24
	v_lshl_or_b32 v24, v22, 12, v12
	v_or_b32_e32 v30, 0x1000, v0
	v_lshlrev_b32_e32 v20, v20, v32
	v_med3_i32 v25, v25, 0, 13
	v_cndmask_b32_e64 v18, 0, 1, vcc_lo
	v_cmp_ne_u32_e32 vcc_lo, v15, v26
	v_lshl_or_b32 v4, v4, 9, 0x7c00
	v_lshrrev_b32_e32 v5, 16, v5
	v_and_or_b32 v6, 0x1ff, v7, v6
	v_or_b32_e32 v18, v23, v18
	v_cndmask_b32_e64 v15, 0, 1, vcc_lo
	v_cmp_ne_u32_e32 vcc_lo, 0, v10
	v_lshrrev_b32_e32 v1, 16, v1
	v_or_b32_e32 v15, v28, v15
	v_cndmask_b32_e64 v10, 0, 1, vcc_lo
	v_cmp_gt_i32_e32 vcc_lo, 1, v21
	v_lshl_or_b32 v10, v10, 9, 0x7c00
	v_cndmask_b32_e32 v18, v31, v18, vcc_lo
	v_cmp_gt_i32_e32 vcc_lo, 1, v16
	v_and_b32_e32 v23, 7, v18
	v_cndmask_b32_e32 v15, v27, v15, vcc_lo
	v_cmp_ne_u32_e32 vcc_lo, v20, v29
	v_lshrrev_b32_e32 v18, 2, v18
	v_cmp_eq_u32_e64 s0, 3, v23
	v_and_b32_e32 v26, 7, v15
	v_cndmask_b32_e64 v20, 0, 1, vcc_lo
	v_cmp_lt_i32_e32 vcc_lo, 5, v23
	v_lshrrev_b32_e32 v15, 2, v15
	v_cmp_lt_i32_e64 s1, 5, v26
	v_cmp_eq_u32_e64 s2, 3, v26
	s_or_b32 vcc_lo, s0, vcc_lo
	v_or_b32_e32 v20, v32, v20
	v_add_co_ci_u32_e32 v18, vcc_lo, 0, v18, vcc_lo
	s_or_b32 vcc_lo, s2, s1
	v_cmp_ne_u32_e64 s1, 0, v6
	v_add_co_ci_u32_e32 v15, vcc_lo, 0, v15, vcc_lo
	v_cmp_gt_i32_e32 vcc_lo, 31, v21
	s_mul_hi_u32 s2, s8, 0x110
	v_cndmask_b32_e64 v6, 0, 1, s1
	v_cndmask_b32_e32 v18, 0x7c00, v18, vcc_lo
	v_cmp_gt_i32_e32 vcc_lo, 1, v22
	v_cndmask_b32_e32 v20, v24, v20, vcc_lo
	v_cmp_gt_i32_e32 vcc_lo, 31, v16
	v_cndmask_b32_e32 v15, 0x7c00, v15, vcc_lo
	v_cmp_eq_u32_e32 vcc_lo, 0x40f, v21
	v_lshrrev_b32_e32 v21, v25, v30
	v_cndmask_b32_e32 v10, v18, v10, vcc_lo
	v_cmp_eq_u32_e32 vcc_lo, 0x40f, v16
	v_and_b32_e32 v18, 7, v20
	v_and_or_b32 v10, 0x8000, v11, v10
	v_cndmask_b32_e32 v4, v15, v4, vcc_lo
	v_cmp_lt_i32_e32 vcc_lo, 5, v18
	v_cmp_eq_u32_e64 s0, 3, v18
	v_lshrrev_b32_e32 v11, 2, v20
	v_and_or_b32 v4, 0x8000, v5, v4
	v_and_b32_e32 v5, 0xffff, v10
	v_lshlrev_b32_e32 v10, v25, v21
	s_or_b32 vcc_lo, s0, vcc_lo
	v_add_co_ci_u32_e32 v11, vcc_lo, 0, v11, vcc_lo
	v_cmp_ne_u32_e32 vcc_lo, v10, v30
	v_lshl_or_b32 v15, v4, 16, v5
	v_add_nc_u32_e32 v10, 0xfffffc10, v19
	v_cndmask_b32_e64 v4, 0, 1, vcc_lo
	v_cmp_ne_u32_e32 vcc_lo, 0, v12
	v_or_b32_e32 v16, v21, v4
	v_cvt_f64_f32_e32 v[4:5], v2
	v_cndmask_b32_e64 v12, 0, 1, vcc_lo
	v_cmp_gt_i32_e32 vcc_lo, 31, v22
	v_lshl_or_b32 v2, v10, 12, v0
	v_lshl_or_b32 v12, v12, 9, 0x7c00
	v_cndmask_b32_e32 v11, 0x7c00, v11, vcc_lo
	v_cmp_gt_i32_e32 vcc_lo, 1, v10
	v_cndmask_b32_e32 v2, v2, v16, vcc_lo
	v_add_co_u32 v8, vcc_lo, v14, v8
	v_add_co_ci_u32_e32 v9, vcc_lo, v17, v9, vcc_lo
	v_and_b32_e32 v14, 7, v2
	v_cmp_eq_u32_e32 vcc_lo, 0x40f, v22
	ds_read_b32 v16, v43 offset:816
	v_lshrrev_b32_e32 v2, 2, v2
	v_mul_f64 v[4:5], v[4:5], s[6:7]
	v_cmp_eq_u32_e64 s0, 3, v14
	v_cndmask_b32_e32 v11, v11, v12, vcc_lo
	v_cmp_lt_i32_e32 vcc_lo, 5, v14
	v_lshrrev_b32_e32 v12, 16, v13
	v_lshrrev_b32_e32 v13, 8, v7
	v_bfe_u32 v14, v7, 20, 11
	v_lshrrev_b32_e32 v7, 16, v7
	s_or_b32 vcc_lo, s0, vcc_lo
	s_mul_i32 s0, s9, 0x110
	v_add_co_ci_u32_e32 v2, vcc_lo, 0, v2, vcc_lo
	v_cmp_ne_u32_e32 vcc_lo, 0, v0
	v_and_or_b32 v6, 0xffe, v13, v6
	v_sub_nc_u32_e32 v13, 0x3f1, v14
	v_add_nc_u32_e32 v14, 0xfffffc10, v14
	s_add_i32 s2, s2, s0
	v_cndmask_b32_e64 v0, 0, 1, vcc_lo
	v_cmp_gt_i32_e32 vcc_lo, 31, v10
	s_waitcnt lgkmcnt(0)
	v_lshrrev_b32_e32 v17, 16, v16
	v_or_b32_e32 v18, 0x1000, v6
	v_med3_i32 v13, v13, 0, 13
	v_lshl_or_b32 v0, v0, 9, 0x7c00
	v_cndmask_b32_e32 v2, 0x7c00, v2, vcc_lo
	v_cmp_eq_u32_e32 vcc_lo, 0x40f, v10
	v_mul_f16_sdwa v19, v57, v17 dst_sel:DWORD dst_unused:UNUSED_PAD src0_sel:WORD_1 src1_sel:DWORD
	v_and_or_b32 v4, 0x1ff, v5, v4
	v_and_or_b32 v10, 0x8000, v12, v11
	v_cndmask_b32_e32 v0, v2, v0, vcc_lo
	v_lshrrev_b32_e32 v2, v13, v18
	v_fmac_f16_e32 v19, v57, v16
	v_cmp_ne_u32_e32 vcc_lo, 0, v4
	v_and_b32_e32 v10, 0xffff, v10
	v_and_or_b32 v11, 0x8000, v1, v0
	v_lshlrev_b32_e32 v12, v13, v2
	v_cvt_f32_f16_e32 v0, v19
	v_cndmask_b32_e64 v4, 0, 1, vcc_lo
	v_lshrrev_b32_e32 v13, 8, v5
	v_bfe_u32 v19, v5, 20, 11
	v_cmp_ne_u32_e32 vcc_lo, v12, v18
	v_cvt_f64_f32_e32 v[0:1], v0
	v_lshl_or_b32 v20, v11, 16, v10
	v_and_or_b32 v4, 0xffe, v13, v4
	v_sub_nc_u32_e32 v13, 0x3f1, v19
	v_cndmask_b32_e64 v12, 0, 1, vcc_lo
	v_cmp_gt_i32_e32 vcc_lo, 1, v14
	v_mul_f16_sdwa v16, v57, v16 dst_sel:DWORD dst_unused:UNUSED_PAD src0_sel:WORD_1 src1_sel:DWORD
	v_or_b32_e32 v18, 0x1000, v4
	v_med3_i32 v13, v13, 0, 13
	v_or_b32_e32 v2, v2, v12
	v_lshl_or_b32 v12, v14, 12, v6
	v_fma_f16 v16, v57, v17, -v16
	v_add_nc_u32_e32 v17, 0xfffffc10, v19
	v_cndmask_b32_e32 v2, v12, v2, vcc_lo
	v_lshrrev_b32_e32 v12, v13, v18
	v_add_co_u32 v10, vcc_lo, v8, s3
	v_add_co_ci_u32_e32 v11, vcc_lo, s2, v9, vcc_lo
	v_lshlrev_b32_e32 v13, v13, v12
	v_and_b32_e32 v21, 7, v2
	v_mul_f64 v[0:1], v[0:1], s[6:7]
	v_lshrrev_b32_e32 v2, 2, v2
	v_cvt_f32_f16_e32 v16, v16
	v_cmp_ne_u32_e64 s0, v13, v18
	v_cmp_lt_i32_e32 vcc_lo, 5, v21
	v_lshl_or_b32 v19, v17, 12, v4
	global_store_dword v[8:9], v15, off
	global_store_dword v[10:11], v20, off
	v_cndmask_b32_e64 v13, 0, 1, s0
	v_cmp_eq_u32_e64 s0, 3, v21
	v_or_b32_e32 v18, v12, v13
	s_or_b32 vcc_lo, s0, vcc_lo
	v_cvt_f64_f32_e32 v[12:13], v16
	v_add_co_ci_u32_e32 v2, vcc_lo, 0, v2, vcc_lo
	v_cmp_ne_u32_e32 vcc_lo, 0, v6
	v_and_or_b32 v0, 0x1ff, v1, v0
	v_cndmask_b32_e64 v6, 0, 1, vcc_lo
	v_cmp_gt_i32_e32 vcc_lo, 1, v17
	v_bfe_u32 v21, v1, 20, 11
	v_lshl_or_b32 v6, v6, 9, 0x7c00
	v_cndmask_b32_e32 v16, v19, v18, vcc_lo
	v_cmp_gt_i32_e32 vcc_lo, 31, v14
	v_lshrrev_b32_e32 v19, 8, v1
	v_and_b32_e32 v18, 7, v16
	v_cndmask_b32_e32 v2, 0x7c00, v2, vcc_lo
	v_cmp_ne_u32_e32 vcc_lo, 0, v0
	v_mul_f64 v[12:13], v[12:13], s[6:7]
	v_cmp_eq_u32_e64 s0, 3, v18
	v_cndmask_b32_e64 v0, 0, 1, vcc_lo
	v_cmp_eq_u32_e32 vcc_lo, 0x40f, v14
	v_lshrrev_b32_e32 v14, 2, v16
	v_and_or_b32 v0, 0xffe, v19, v0
	v_cndmask_b32_e32 v2, v2, v6, vcc_lo
	v_cmp_lt_i32_e32 vcc_lo, 5, v18
	v_sub_nc_u32_e32 v6, 0x3f1, v21
	v_lshrrev_b32_e32 v18, 16, v3
	v_or_b32_e32 v16, 0x1000, v0
	v_and_or_b32 v2, 0x8000, v7, v2
	s_or_b32 vcc_lo, s0, vcc_lo
	v_med3_i32 v6, v6, 0, 13
	v_add_co_ci_u32_e32 v14, vcc_lo, 0, v14, vcc_lo
	v_cmp_ne_u32_e32 vcc_lo, 0, v4
	v_mul_f16_sdwa v22, v56, v18 dst_sel:DWORD dst_unused:UNUSED_PAD src0_sel:WORD_1 src1_sel:DWORD
	v_lshrrev_b32_e32 v19, v6, v16
	v_and_b32_e32 v2, 0xffff, v2
	v_cndmask_b32_e64 v4, 0, 1, vcc_lo
	v_cmp_gt_i32_e32 vcc_lo, 31, v17
	v_lshlrev_b32_e32 v6, v6, v19
	v_fmac_f16_e32 v22, v56, v3
	v_lshl_or_b32 v4, v4, 9, 0x7c00
	v_cndmask_b32_e32 v14, 0x7c00, v14, vcc_lo
	v_cmp_eq_u32_e32 vcc_lo, 0x40f, v17
	v_lshrrev_b32_e32 v17, 8, v13
	v_cndmask_b32_e32 v7, v14, v4, vcc_lo
	v_and_or_b32 v4, 0x1ff, v13, v12
	v_cmp_ne_u32_e32 vcc_lo, v6, v16
	v_lshrrev_b32_e32 v14, 16, v5
	v_cvt_f32_f16_e32 v5, v22
	v_add_nc_u32_e32 v12, 0xfffffc10, v21
	v_bfe_u32 v21, v13, 20, 11
	v_cndmask_b32_e64 v6, 0, 1, vcc_lo
	v_cmp_ne_u32_e32 vcc_lo, 0, v4
	v_cvt_f64_f32_e32 v[4:5], v5
	v_and_or_b32 v7, 0x8000, v14, v7
	v_lshl_or_b32 v14, v12, 12, v0
	v_or_b32_e32 v6, v19, v6
	v_cndmask_b32_e64 v16, 0, 1, vcc_lo
	v_cmp_gt_i32_e32 vcc_lo, 1, v12
	v_lshl_or_b32 v15, v7, 16, v2
	v_and_or_b32 v16, 0xffe, v17, v16
	v_sub_nc_u32_e32 v17, 0x3f1, v21
	v_cndmask_b32_e32 v14, v14, v6, vcc_lo
	v_add_co_u32 v6, vcc_lo, v10, s3
	v_or_b32_e32 v19, 0x1000, v16
	v_med3_i32 v17, v17, 0, 13
	v_and_b32_e32 v2, 7, v14
	v_add_co_ci_u32_e32 v7, vcc_lo, s2, v11, vcc_lo
	v_add_nc_u32_e32 v10, 0xfffffc10, v21
	v_lshrrev_b32_e32 v8, v17, v19
	v_cmp_lt_i32_e32 vcc_lo, 5, v2
	v_mul_f64 v[4:5], v[4:5], s[6:7]
	v_cmp_eq_u32_e64 s0, 3, v2
	v_mul_f16_sdwa v2, v56, v3 dst_sel:DWORD dst_unused:UNUSED_PAD src0_sel:WORD_1 src1_sel:DWORD
	v_lshlrev_b32_e32 v9, v17, v8
	v_lshrrev_b32_e32 v3, 2, v14
	v_add_nc_u32_e32 v11, 0x400, v50
	s_or_b32 vcc_lo, s0, vcc_lo
	v_fma_f16 v2, v56, v18, -v2
	v_cmp_ne_u32_e64 s1, v9, v19
	v_add_co_ci_u32_e32 v14, vcc_lo, 0, v3, vcc_lo
	v_cmp_ne_u32_e32 vcc_lo, 0, v0
	v_lshl_or_b32 v18, v10, 12, v16
	v_cndmask_b32_e64 v9, 0, 1, s1
	v_lshrrev_b32_e32 v21, 16, v1
	global_store_dword v[6:7], v15, off
	v_cndmask_b32_e64 v0, 0, 1, vcc_lo
	v_cmp_gt_i32_e32 vcc_lo, 1, v10
	v_or_b32_e32 v17, v8, v9
	v_cvt_f32_f16_e32 v8, v2
	ds_read2_b32 v[2:3], v11 offset0:84 offset1:152
	v_lshl_or_b32 v0, v0, 9, 0x7c00
	v_and_or_b32 v4, 0x1ff, v5, v4
	v_cndmask_b32_e32 v11, v18, v17, vcc_lo
	v_cvt_f64_f32_e32 v[8:9], v8
	v_cmp_gt_i32_e32 vcc_lo, 31, v12
	v_lshrrev_b32_e32 v18, 8, v5
	v_bfe_u32 v19, v5, 20, 11
	v_and_b32_e32 v17, 7, v11
	v_lshrrev_b32_e32 v11, 2, v11
	v_cndmask_b32_e32 v14, 0x7c00, v14, vcc_lo
	v_cmp_ne_u32_e32 vcc_lo, 0, v4
	v_cmp_eq_u32_e64 s0, 3, v17
	v_cndmask_b32_e64 v4, 0, 1, vcc_lo
	v_cmp_eq_u32_e32 vcc_lo, 0x40f, v12
	v_and_or_b32 v4, 0xffe, v18, v4
	v_cndmask_b32_e32 v12, v14, v0, vcc_lo
	v_cmp_lt_i32_e32 vcc_lo, 5, v17
	v_sub_nc_u32_e32 v0, 0x3f1, v19
	s_waitcnt lgkmcnt(0)
	v_lshrrev_b32_e32 v14, 16, v2
	v_mul_f64 v[8:9], v[8:9], s[6:7]
	v_or_b32_e32 v17, 0x1000, v4
	s_or_b32 vcc_lo, s0, vcc_lo
	v_med3_i32 v0, v0, 0, 13
	v_add_co_ci_u32_e32 v11, vcc_lo, 0, v11, vcc_lo
	v_mul_f16_sdwa v18, v55, v14 dst_sel:DWORD dst_unused:UNUSED_PAD src0_sel:WORD_1 src1_sel:DWORD
	v_cmp_ne_u32_e32 vcc_lo, 0, v16
	v_lshrrev_b32_e32 v20, v0, v17
	v_and_or_b32 v12, 0x8000, v21, v12
	v_fmac_f16_e32 v18, v55, v2
	v_cndmask_b32_e64 v16, 0, 1, vcc_lo
	v_cmp_gt_i32_e32 vcc_lo, 31, v10
	v_and_b32_e32 v12, 0xffff, v12
	v_mul_f16_sdwa v2, v55, v2 dst_sel:DWORD dst_unused:UNUSED_PAD src0_sel:WORD_1 src1_sel:DWORD
	v_cvt_f32_f16_e32 v1, v18
	v_lshl_or_b32 v16, v16, 9, 0x7c00
	v_cndmask_b32_e32 v11, 0x7c00, v11, vcc_lo
	v_lshlrev_b32_e32 v18, v0, v20
	v_cmp_eq_u32_e32 vcc_lo, 0x40f, v10
	v_cvt_f64_f32_e32 v[0:1], v1
	v_and_or_b32 v8, 0x1ff, v9, v8
	v_fma_f16 v2, v55, v14, -v2
	v_cndmask_b32_e32 v10, v11, v16, vcc_lo
	v_cmp_ne_u32_e32 vcc_lo, v18, v17
	v_lshrrev_b32_e32 v11, 16, v13
	v_add_nc_u32_e32 v16, 0xfffffc10, v19
	v_lshrrev_b32_e32 v17, 8, v9
	v_bfe_u32 v18, v9, 20, 11
	v_cndmask_b32_e64 v13, 0, 1, vcc_lo
	v_cmp_ne_u32_e32 vcc_lo, 0, v8
	v_and_or_b32 v10, 0x8000, v11, v10
	v_cvt_f32_f16_e32 v2, v2
	v_lshrrev_b32_e32 v9, 16, v9
	v_or_b32_e32 v11, v20, v13
	v_lshl_or_b32 v13, v16, 12, v4
	v_cndmask_b32_e64 v8, 0, 1, vcc_lo
	v_cmp_gt_i32_e32 vcc_lo, 1, v16
	v_lshl_or_b32 v10, v10, 16, v12
	v_and_or_b32 v8, 0xffe, v17, v8
	v_cndmask_b32_e32 v11, v13, v11, vcc_lo
	v_sub_nc_u32_e32 v13, 0x3f1, v18
	v_add_co_u32 v6, vcc_lo, v6, s3
	v_or_b32_e32 v15, 0x1000, v8
	v_and_b32_e32 v12, 7, v11
	v_med3_i32 v13, v13, 0, 13
	v_add_co_ci_u32_e32 v7, vcc_lo, s2, v7, vcc_lo
	v_mul_f64 v[0:1], v[0:1], s[6:7]
	v_cmp_lt_i32_e32 vcc_lo, 5, v12
	v_lshrrev_b32_e32 v17, v13, v15
	v_cmp_eq_u32_e64 s0, 3, v12
	global_store_dword v[6:7], v10, off
	v_lshrrev_b32_e32 v10, 2, v11
	v_lshlrev_b32_e32 v11, v13, v17
	s_or_b32 vcc_lo, s0, vcc_lo
	v_add_nc_u32_e32 v13, 0xfffffc10, v18
	v_add_co_ci_u32_e32 v12, vcc_lo, 0, v10, vcc_lo
	v_cmp_ne_u32_e32 vcc_lo, v11, v15
	v_lshl_or_b32 v15, v13, 12, v8
	v_cndmask_b32_e64 v10, 0, 1, vcc_lo
	v_cmp_ne_u32_e32 vcc_lo, 0, v4
	v_or_b32_e32 v14, v17, v10
	v_cndmask_b32_e64 v4, 0, 1, vcc_lo
	v_cmp_gt_i32_e32 vcc_lo, 31, v16
	v_and_or_b32 v0, 0x1ff, v1, v0
	v_cvt_f64_f32_e32 v[10:11], v2
	v_lshrrev_b32_e32 v17, 16, v5
	v_lshl_or_b32 v4, v4, 9, 0x7c00
	v_cndmask_b32_e32 v2, 0x7c00, v12, vcc_lo
	v_cmp_gt_i32_e32 vcc_lo, 1, v13
	v_cndmask_b32_e32 v12, v15, v14, vcc_lo
	v_cmp_ne_u32_e32 vcc_lo, 0, v0
	v_lshrrev_b32_e32 v14, 8, v1
	v_bfe_u32 v15, v1, 20, 11
	v_lshrrev_b32_e32 v1, 16, v1
	v_cndmask_b32_e64 v0, 0, 1, vcc_lo
	v_cmp_eq_u32_e32 vcc_lo, 0x40f, v16
	v_sub_nc_u32_e32 v16, 0x3f1, v15
	v_add_nc_u32_e32 v15, 0xfffffc10, v15
	v_and_or_b32 v0, 0xffe, v14, v0
	v_cndmask_b32_e32 v2, v2, v4, vcc_lo
	v_and_b32_e32 v4, 7, v12
	v_lshrrev_b32_e32 v14, 16, v3
	v_lshrrev_b32_e32 v12, 2, v12
	v_or_b32_e32 v18, 0x1000, v0
	v_med3_i32 v16, v16, 0, 13
	v_cmp_lt_i32_e32 vcc_lo, 5, v4
	v_cmp_eq_u32_e64 s0, 3, v4
	v_mul_f16_sdwa v19, v54, v14 dst_sel:DWORD dst_unused:UNUSED_PAD src0_sel:WORD_1 src1_sel:DWORD
	v_mul_f64 v[4:5], v[10:11], s[6:7]
	v_lshrrev_b32_e32 v20, v16, v18
	v_and_or_b32 v2, 0x8000, v17, v2
	s_or_b32 vcc_lo, s0, vcc_lo
	v_fmac_f16_e32 v19, v54, v3
	v_add_co_ci_u32_e32 v10, vcc_lo, 0, v12, vcc_lo
	v_cmp_ne_u32_e32 vcc_lo, 0, v8
	v_lshlrev_b32_e32 v12, v16, v20
	v_cvt_f32_f16_e32 v11, v19
	v_and_b32_e32 v2, 0xffff, v2
	v_cndmask_b32_e64 v8, 0, 1, vcc_lo
	v_cmp_gt_i32_e32 vcc_lo, 31, v13
	v_lshl_or_b32 v8, v8, 9, 0x7c00
	v_cndmask_b32_e32 v16, 0x7c00, v10, vcc_lo
	v_cmp_ne_u32_e32 vcc_lo, v12, v18
	v_cvt_f64_f32_e32 v[10:11], v11
	v_and_or_b32 v4, 0x1ff, v5, v4
	v_cndmask_b32_e64 v12, 0, 1, vcc_lo
	v_cmp_eq_u32_e32 vcc_lo, 0x40f, v13
	v_lshl_or_b32 v13, v15, 12, v0
	v_or_b32_e32 v12, v20, v12
	v_cndmask_b32_e32 v8, v16, v8, vcc_lo
	v_cmp_gt_i32_e32 vcc_lo, 1, v15
	v_bfe_u32 v16, v5, 20, 11
	v_and_or_b32 v8, 0x8000, v9, v8
	v_cndmask_b32_e32 v12, v13, v12, vcc_lo
	v_cmp_ne_u32_e32 vcc_lo, 0, v4
	v_lshrrev_b32_e32 v13, 8, v5
	v_lshrrev_b32_e32 v5, 16, v5
	v_lshl_or_b32 v18, v8, 16, v2
	v_and_b32_e32 v17, 7, v12
	v_cndmask_b32_e64 v4, 0, 1, vcc_lo
	v_mul_f64 v[8:9], v[10:11], s[6:7]
	v_sub_nc_u32_e32 v2, 0x3f1, v16
	v_lshrrev_b32_e32 v10, 2, v12
	v_cmp_lt_i32_e32 vcc_lo, 5, v17
	v_and_or_b32 v4, 0xffe, v13, v4
	v_cmp_eq_u32_e64 s0, 3, v17
	v_med3_i32 v12, v2, 0, 13
	v_mul_f16_sdwa v2, v54, v3 dst_sel:DWORD dst_unused:UNUSED_PAD src0_sel:WORD_1 src1_sel:DWORD
	v_add_nc_u32_e32 v16, 0xfffffc10, v16
	v_or_b32_e32 v11, 0x1000, v4
	s_or_b32 vcc_lo, s0, vcc_lo
	v_add_co_ci_u32_e32 v10, vcc_lo, 0, v10, vcc_lo
	v_lshrrev_b32_e32 v13, v12, v11
	v_fma_f16 v14, v54, v14, -v2
	v_add_co_u32 v2, vcc_lo, v6, s3
	v_add_co_ci_u32_e32 v3, vcc_lo, s2, v7, vcc_lo
	v_lshlrev_b32_e32 v12, v12, v13
	v_cmp_gt_i32_e32 vcc_lo, 31, v15
	v_cvt_f32_f16_e32 v6, v14
	v_and_or_b32 v8, 0x1ff, v9, v8
	v_lshrrev_b32_e32 v17, 8, v9
	v_bfe_u32 v19, v9, 20, 11
	v_cndmask_b32_e32 v14, 0x7c00, v10, vcc_lo
	v_cmp_ne_u32_e32 vcc_lo, v12, v11
	v_cvt_f64_f32_e32 v[6:7], v6
	v_add_nc_u32_e32 v10, 0x600, v50
	global_store_dword v[2:3], v18, off
	v_lshrrev_b32_e32 v9, 16, v9
	v_cndmask_b32_e64 v12, 0, 1, vcc_lo
	v_cmp_ne_u32_e32 vcc_lo, 0, v8
	ds_read2_b32 v[10:11], v10 offset0:92 offset1:160
	v_or_b32_e32 v12, v13, v12
	v_cndmask_b32_e64 v8, 0, 1, vcc_lo
	v_cmp_ne_u32_e32 vcc_lo, 0, v0
	v_lshl_or_b32 v13, v16, 12, v4
	v_and_or_b32 v8, 0xffe, v17, v8
	v_cndmask_b32_e64 v0, 0, 1, vcc_lo
	v_sub_nc_u32_e32 v17, 0x3f1, v19
	v_cmp_gt_i32_e32 vcc_lo, 1, v16
	v_lshl_or_b32 v0, v0, 9, 0x7c00
	v_med3_i32 v17, v17, 0, 13
	v_cndmask_b32_e32 v12, v13, v12, vcc_lo
	v_or_b32_e32 v13, 0x1000, v8
	v_cmp_eq_u32_e32 vcc_lo, 0x40f, v15
	v_mul_f64 v[6:7], v[6:7], s[6:7]
	s_waitcnt lgkmcnt(0)
	v_lshrrev_b32_e32 v18, 16, v10
	v_and_b32_e32 v15, 7, v12
	v_lshrrev_b32_e32 v12, 2, v12
	v_cndmask_b32_e32 v0, v14, v0, vcc_lo
	v_lshrrev_b32_e32 v14, v17, v13
	v_cmp_lt_i32_e32 vcc_lo, 5, v15
	v_cmp_eq_u32_e64 s0, 3, v15
	v_and_or_b32 v20, 0x8000, v1, v0
	v_lshlrev_b32_e32 v0, v17, v14
	v_mul_f16_sdwa v1, v53, v18 dst_sel:DWORD dst_unused:UNUSED_PAD src0_sel:WORD_1 src1_sel:DWORD
	s_or_b32 vcc_lo, s0, vcc_lo
	v_cmp_ne_u32_e64 s1, v0, v13
	v_add_co_ci_u32_e32 v12, vcc_lo, 0, v12, vcc_lo
	v_add_nc_u32_e32 v13, 0xfffffc10, v19
	v_cmp_ne_u32_e32 vcc_lo, 0, v4
	v_cndmask_b32_e64 v0, 0, 1, s1
	v_fmac_f16_e32 v1, v53, v10
	v_and_or_b32 v6, 0x1ff, v7, v6
	v_lshl_or_b32 v15, v13, 12, v8
	v_cndmask_b32_e64 v4, 0, 1, vcc_lo
	v_or_b32_e32 v14, v14, v0
	v_cmp_gt_i32_e32 vcc_lo, 1, v13
	v_cvt_f32_f16_e32 v0, v1
	v_bfe_u32 v17, v7, 20, 11
	v_lshl_or_b32 v4, v4, 9, 0x7c00
	v_mul_f16_sdwa v10, v53, v10 dst_sel:DWORD dst_unused:UNUSED_PAD src0_sel:WORD_1 src1_sel:DWORD
	v_cndmask_b32_e32 v14, v15, v14, vcc_lo
	v_cmp_ne_u32_e32 vcc_lo, 0, v6
	v_lshrrev_b32_e32 v15, 8, v7
	v_cvt_f64_f32_e32 v[0:1], v0
	v_lshrrev_b32_e32 v7, 16, v7
	v_and_b32_e32 v19, 7, v14
	v_cndmask_b32_e64 v6, 0, 1, vcc_lo
	v_cmp_gt_i32_e32 vcc_lo, 31, v16
	v_cmp_eq_u32_e64 s0, 3, v19
	v_and_or_b32 v6, 0xffe, v15, v6
	v_cndmask_b32_e32 v12, 0x7c00, v12, vcc_lo
	v_sub_nc_u32_e32 v15, 0x3f1, v17
	v_cmp_eq_u32_e32 vcc_lo, 0x40f, v16
	v_med3_i32 v15, v15, 0, 13
	v_cndmask_b32_e32 v4, v12, v4, vcc_lo
	v_or_b32_e32 v12, 0x1000, v6
	v_cmp_lt_i32_e32 vcc_lo, 5, v19
	v_and_or_b32 v19, 0x8000, v5, v4
	v_lshrrev_b32_e32 v16, v15, v12
	v_lshrrev_b32_e32 v4, 2, v14
	v_fma_f16 v5, v53, v18, -v10
	s_or_b32 vcc_lo, s0, vcc_lo
	v_mul_f64 v[0:1], v[0:1], s[6:7]
	v_lshlrev_b32_e32 v10, v15, v16
	v_add_co_ci_u32_e32 v14, vcc_lo, 0, v4, vcc_lo
	v_cvt_f32_f16_e32 v4, v5
	v_cmp_ne_u32_e32 vcc_lo, v10, v12
	v_add_nc_u32_e32 v12, 0xfffffc10, v17
	v_lshrrev_b32_e32 v17, 16, v11
	v_cvt_f64_f32_e32 v[4:5], v4
	v_cndmask_b32_e64 v10, 0, 1, vcc_lo
	v_cmp_ne_u32_e32 vcc_lo, 0, v8
	v_lshl_or_b32 v15, v12, 12, v6
	v_or_b32_e32 v10, v16, v10
	v_cndmask_b32_e64 v8, 0, 1, vcc_lo
	v_cmp_gt_i32_e32 vcc_lo, 31, v13
	v_lshl_or_b32 v8, v8, 9, 0x7c00
	v_cndmask_b32_e32 v14, 0x7c00, v14, vcc_lo
	v_cmp_gt_i32_e32 vcc_lo, 1, v12
	v_and_or_b32 v0, 0x1ff, v1, v0
	v_bfe_u32 v16, v1, 20, 11
	v_cndmask_b32_e32 v10, v15, v10, vcc_lo
	v_cmp_eq_u32_e32 vcc_lo, 0x40f, v13
	v_mul_f64 v[4:5], v[4:5], s[6:7]
	v_and_b32_e32 v15, 0xffff, v20
	v_and_b32_e32 v13, 7, v10
	v_cndmask_b32_e32 v8, v14, v8, vcc_lo
	v_cmp_ne_u32_e32 vcc_lo, 0, v0
	v_lshrrev_b32_e32 v10, 2, v10
	v_lshrrev_b32_e32 v14, 8, v1
	v_cmp_eq_u32_e64 s0, 3, v13
	v_and_or_b32 v8, 0x8000, v9, v8
	v_cndmask_b32_e64 v0, 0, 1, vcc_lo
	v_cmp_lt_i32_e32 vcc_lo, 5, v13
	v_sub_nc_u32_e32 v13, 0x3f1, v16
	v_lshl_or_b32 v15, v19, 16, v15
	v_and_b32_e32 v8, 0xffff, v8
	v_and_or_b32 v0, 0xffe, v14, v0
	s_or_b32 vcc_lo, s0, vcc_lo
	v_med3_i32 v13, v13, 0, 13
	v_add_co_ci_u32_e32 v10, vcc_lo, 0, v10, vcc_lo
	v_cmp_ne_u32_e32 vcc_lo, 0, v6
	v_or_b32_e32 v14, 0x1000, v0
	v_and_or_b32 v4, 0x1ff, v5, v4
	v_cndmask_b32_e64 v6, 0, 1, vcc_lo
	v_cmp_gt_i32_e32 vcc_lo, 31, v12
	v_lshrrev_b32_e32 v18, v13, v14
	v_lshl_or_b32 v6, v6, 9, 0x7c00
	v_cndmask_b32_e32 v10, 0x7c00, v10, vcc_lo
	v_cmp_eq_u32_e32 vcc_lo, 0x40f, v12
	v_lshlrev_b32_e32 v12, v13, v18
	v_bfe_u32 v13, v5, 20, 11
	v_cndmask_b32_e32 v6, v10, v6, vcc_lo
	v_mul_f16_sdwa v10, v52, v17 dst_sel:DWORD dst_unused:UNUSED_PAD src0_sel:WORD_1 src1_sel:DWORD
	v_cmp_ne_u32_e32 vcc_lo, v12, v14
	v_add_nc_u32_e32 v14, 0xfffffc10, v16
	v_and_or_b32 v9, 0x8000, v7, v6
	v_fmac_f16_e32 v10, v52, v11
	v_cndmask_b32_e64 v12, 0, 1, vcc_lo
	v_cmp_ne_u32_e32 vcc_lo, 0, v4
	v_lshl_or_b32 v16, v14, 12, v0
	v_mul_f16_sdwa v11, v52, v11 dst_sel:DWORD dst_unused:UNUSED_PAD src0_sel:WORD_1 src1_sel:DWORD
	v_cvt_f32_f16_e32 v6, v10
	v_lshrrev_b32_e32 v10, 8, v5
	v_cndmask_b32_e64 v4, 0, 1, vcc_lo
	v_or_b32_e32 v12, v18, v12
	v_cmp_gt_i32_e32 vcc_lo, 1, v14
	v_cvt_f64_f32_e32 v[6:7], v6
	v_lshl_or_b32 v18, v9, 16, v8
	v_and_or_b32 v4, 0xffe, v10, v4
	v_sub_nc_u32_e32 v10, 0x3f1, v13
	v_cndmask_b32_e32 v12, v16, v12, vcc_lo
	v_add_co_u32 v2, vcc_lo, v2, s3
	v_or_b32_e32 v16, 0x1000, v4
	v_med3_i32 v10, v10, 0, 13
	v_add_co_ci_u32_e32 v3, vcc_lo, s2, v3, vcc_lo
	v_and_b32_e32 v19, 7, v12
	v_add_co_u32 v8, vcc_lo, v2, s3
	v_lshrrev_b32_e32 v20, v10, v16
	v_add_co_ci_u32_e32 v9, vcc_lo, s2, v3, vcc_lo
	v_cmp_lt_i32_e32 vcc_lo, 5, v19
	v_cmp_eq_u32_e64 s0, 3, v19
	v_lshlrev_b32_e32 v10, v10, v20
	v_fma_f16 v11, v52, v17, -v11
	v_lshrrev_b32_e32 v12, 2, v12
	v_mul_f64 v[6:7], v[6:7], s[6:7]
	s_or_b32 vcc_lo, s0, vcc_lo
	v_cmp_ne_u32_e64 s1, v10, v16
	v_cvt_f32_f16_e32 v11, v11
	v_add_co_ci_u32_e32 v17, vcc_lo, 0, v12, vcc_lo
	v_add_nc_u32_e32 v16, 0xfffffc10, v13
	v_cndmask_b32_e64 v10, 0, 1, s1
	v_cmp_ne_u32_e32 vcc_lo, 0, v0
	v_add_nc_u32_e32 v13, 0x800, v50
	v_or_b32_e32 v19, v20, v10
	v_cvt_f64_f32_e32 v[10:11], v11
	v_lshl_or_b32 v20, v16, 12, v4
	v_cndmask_b32_e64 v0, 0, 1, vcc_lo
	v_cmp_gt_i32_e32 vcc_lo, 1, v16
	ds_read2_b32 v[12:13], v13 offset0:100 offset1:168
	global_store_dword v[2:3], v15, off
	global_store_dword v[8:9], v18, off
	v_lshl_or_b32 v0, v0, 9, 0x7c00
	v_cndmask_b32_e32 v19, v20, v19, vcc_lo
	v_and_or_b32 v6, 0x1ff, v7, v6
	v_cmp_gt_i32_e32 vcc_lo, 31, v14
	v_lshrrev_b32_e32 v21, 8, v7
	v_bfe_u32 v22, v7, 20, 11
	v_and_b32_e32 v20, 7, v19
	v_lshrrev_b32_e32 v7, 16, v7
	v_cndmask_b32_e32 v17, 0x7c00, v17, vcc_lo
	v_cmp_ne_u32_e32 vcc_lo, 0, v6
	v_cmp_eq_u32_e64 s0, 3, v20
	v_cndmask_b32_e64 v6, 0, 1, vcc_lo
	v_cmp_eq_u32_e32 vcc_lo, 0x40f, v14
	v_and_or_b32 v6, 0xffe, v21, v6
	v_cndmask_b32_e32 v14, v17, v0, vcc_lo
	v_cmp_lt_i32_e32 vcc_lo, 5, v20
	v_lshrrev_b32_e32 v17, 16, v1
	v_mul_f64 v[0:1], v[10:11], s[6:7]
	v_lshrrev_b32_e32 v11, 2, v19
	v_sub_nc_u32_e32 v21, 0x3f1, v22
	s_or_b32 vcc_lo, s0, vcc_lo
	v_or_b32_e32 v19, 0x1000, v6
	s_waitcnt lgkmcnt(0)
	v_lshrrev_b32_e32 v10, 16, v12
	v_add_co_ci_u32_e32 v11, vcc_lo, 0, v11, vcc_lo
	v_med3_i32 v20, v21, 0, 13
	v_cmp_ne_u32_e32 vcc_lo, 0, v4
	v_mul_f16_sdwa v21, v51, v10 dst_sel:DWORD dst_unused:UNUSED_PAD src0_sel:WORD_1 src1_sel:DWORD
	v_and_or_b32 v14, 0x8000, v17, v14
	v_lshrrev_b32_e32 v23, v20, v19
	v_cndmask_b32_e64 v4, 0, 1, vcc_lo
	v_cmp_gt_i32_e32 vcc_lo, 31, v16
	v_fmac_f16_e32 v21, v51, v12
	v_and_b32_e32 v14, 0xffff, v14
	v_lshlrev_b32_e32 v17, v20, v23
	v_lshl_or_b32 v4, v4, 9, 0x7c00
	v_cndmask_b32_e32 v11, 0x7c00, v11, vcc_lo
	v_cmp_eq_u32_e32 vcc_lo, 0x40f, v16
	v_and_or_b32 v0, 0x1ff, v1, v0
	v_cvt_f32_f16_e32 v20, v21
	v_lshrrev_b32_e32 v16, 16, v5
	v_bfe_u32 v21, v1, 20, 11
	v_cndmask_b32_e32 v11, v11, v4, vcc_lo
	v_cmp_ne_u32_e32 vcc_lo, v17, v19
	v_cvt_f64_f32_e32 v[4:5], v20
	v_add_nc_u32_e32 v19, 0xfffffc10, v22
	v_lshrrev_b32_e32 v20, 8, v1
	v_and_or_b32 v11, 0x8000, v16, v11
	v_cndmask_b32_e64 v17, 0, 1, vcc_lo
	v_cmp_ne_u32_e32 vcc_lo, 0, v0
	v_lshl_or_b32 v11, v11, 16, v14
	v_or_b32_e32 v16, v23, v17
	v_cndmask_b32_e64 v0, 0, 1, vcc_lo
	v_lshl_or_b32 v17, v19, 12, v6
	v_cmp_gt_i32_e32 vcc_lo, 1, v19
	v_and_or_b32 v0, 0xffe, v20, v0
	v_sub_nc_u32_e32 v20, 0x3f1, v21
	v_cndmask_b32_e32 v16, v17, v16, vcc_lo
	v_or_b32_e32 v17, 0x1000, v0
	v_med3_i32 v20, v20, 0, 13
	v_and_b32_e32 v14, 7, v16
	v_mul_f64 v[2:3], v[4:5], s[6:7]
	v_add_co_u32 v4, vcc_lo, v8, s3
	v_lshrrev_b32_e32 v15, v20, v17
	v_add_co_ci_u32_e32 v5, vcc_lo, s2, v9, vcc_lo
	v_cmp_lt_i32_e32 vcc_lo, 5, v14
	v_cmp_eq_u32_e64 s0, 3, v14
	v_lshlrev_b32_e32 v8, v20, v15
	v_mul_f16_sdwa v9, v51, v12 dst_sel:DWORD dst_unused:UNUSED_PAD src0_sel:WORD_1 src1_sel:DWORD
	v_lshrrev_b32_e32 v12, 2, v16
	global_store_dword v[4:5], v11, off
	s_or_b32 vcc_lo, s0, vcc_lo
	v_cmp_ne_u32_e64 s1, v8, v17
	v_fma_f16 v9, v51, v10, -v9
	v_add_co_ci_u32_e32 v12, vcc_lo, 0, v12, vcc_lo
	v_add_nc_u32_e32 v10, 0xfffffc10, v21
	v_cndmask_b32_e64 v8, 0, 1, s1
	v_cmp_ne_u32_e32 vcc_lo, 0, v6
	v_cvt_f32_f16_e32 v9, v9
	v_and_or_b32 v2, 0x1ff, v3, v2
	v_or_b32_e32 v14, v15, v8
	v_lshl_or_b32 v15, v10, 12, v0
	v_cndmask_b32_e64 v6, 0, 1, vcc_lo
	v_cmp_gt_i32_e32 vcc_lo, 1, v10
	v_cvt_f64_f32_e32 v[8:9], v9
	v_lshrrev_b32_e32 v16, 8, v3
	v_bfe_u32 v17, v3, 20, 11
	v_lshl_or_b32 v6, v6, 9, 0x7c00
	v_cndmask_b32_e32 v14, v15, v14, vcc_lo
	v_cmp_gt_i32_e32 vcc_lo, 31, v19
	v_lshrrev_b32_e32 v3, 16, v3
	v_and_b32_e32 v15, 7, v14
	v_cndmask_b32_e32 v12, 0x7c00, v12, vcc_lo
	v_cmp_ne_u32_e32 vcc_lo, 0, v2
	v_lshrrev_b32_e32 v14, 2, v14
	v_cmp_eq_u32_e64 s0, 3, v15
	v_cndmask_b32_e64 v2, 0, 1, vcc_lo
	v_cmp_eq_u32_e32 vcc_lo, 0x40f, v19
	v_and_or_b32 v2, 0xffe, v16, v2
	v_cndmask_b32_e32 v6, v12, v6, vcc_lo
	v_cmp_lt_i32_e32 vcc_lo, 5, v15
	v_lshrrev_b32_e32 v15, 16, v13
	v_mul_f64 v[8:9], v[8:9], s[6:7]
	v_sub_nc_u32_e32 v12, 0x3f1, v17
	v_or_b32_e32 v16, 0x1000, v2
	s_or_b32 vcc_lo, s0, vcc_lo
	v_mul_f16_sdwa v18, v49, v15 dst_sel:DWORD dst_unused:UNUSED_PAD src0_sel:WORD_1 src1_sel:DWORD
	v_add_co_ci_u32_e32 v14, vcc_lo, 0, v14, vcc_lo
	v_cmp_ne_u32_e32 vcc_lo, 0, v0
	v_med3_i32 v12, v12, 0, 13
	v_fmac_f16_e32 v18, v49, v13
	v_and_or_b32 v6, 0x8000, v7, v6
	v_cndmask_b32_e64 v0, 0, 1, vcc_lo
	v_cmp_gt_i32_e32 vcc_lo, 31, v10
	v_lshrrev_b32_e32 v19, v12, v16
	v_cvt_f32_f16_e32 v18, v18
	v_and_b32_e32 v6, 0xffff, v6
	v_lshl_or_b32 v0, v0, 9, 0x7c00
	v_cndmask_b32_e32 v14, 0x7c00, v14, vcc_lo
	v_cmp_eq_u32_e32 vcc_lo, 0x40f, v10
	v_lshlrev_b32_e32 v12, v12, v19
	v_and_or_b32 v8, 0x1ff, v9, v8
	v_cndmask_b32_e32 v10, v14, v0, vcc_lo
	v_lshrrev_b32_e32 v14, 16, v1
	v_cvt_f64_f32_e32 v[0:1], v18
	v_cmp_ne_u32_e32 vcc_lo, v12, v16
	v_add_nc_u32_e32 v16, 0xfffffc10, v17
	v_bfe_u32 v17, v9, 20, 11
	v_and_or_b32 v7, 0x8000, v14, v10
	v_lshrrev_b32_e32 v14, 8, v9
	v_cndmask_b32_e64 v12, 0, 1, vcc_lo
	v_cmp_ne_u32_e32 vcc_lo, 0, v8
	v_lshrrev_b32_e32 v9, 16, v9
	v_or_b32_e32 v10, v19, v12
	v_lshl_or_b32 v12, v16, 12, v2
	v_cndmask_b32_e64 v8, 0, 1, vcc_lo
	v_cmp_gt_i32_e32 vcc_lo, 1, v16
	v_and_or_b32 v8, 0xffe, v14, v8
	v_cndmask_b32_e32 v10, v12, v10, vcc_lo
	v_sub_nc_u32_e32 v12, 0x3f1, v17
	v_lshl_or_b32 v14, v7, 16, v6
	v_mul_f64 v[0:1], v[0:1], s[6:7]
	v_or_b32_e32 v11, 0x1000, v8
	v_and_b32_e32 v6, 7, v10
	v_med3_i32 v7, v12, 0, 13
	v_add_co_u32 v4, vcc_lo, v4, s3
	v_mul_f16_sdwa v12, v49, v13 dst_sel:DWORD dst_unused:UNUSED_PAD src0_sel:WORD_1 src1_sel:DWORD
	v_add_co_ci_u32_e32 v5, vcc_lo, s2, v5, vcc_lo
	v_lshrrev_b32_e32 v13, v7, v11
	v_cmp_lt_i32_e32 vcc_lo, 5, v6
	v_cmp_eq_u32_e64 s0, 3, v6
	v_lshrrev_b32_e32 v6, 2, v10
	v_fma_f16 v12, v49, v15, -v12
	v_lshlrev_b32_e32 v10, v7, v13
	v_add_nc_u32_e32 v7, 0xa00, v50
	s_or_b32 vcc_lo, s0, vcc_lo
	v_add_co_ci_u32_e32 v15, vcc_lo, 0, v6, vcc_lo
	v_cmp_ne_u32_e32 vcc_lo, v10, v11
	v_cvt_f32_f16_e32 v12, v12
	v_and_or_b32 v0, 0x1ff, v1, v0
	ds_read2_b32 v[6:7], v7 offset0:108 offset1:176
	v_bfe_u32 v19, v1, 20, 11
	v_cndmask_b32_e64 v18, 0, 1, vcc_lo
	v_cmp_gt_i32_e32 vcc_lo, 31, v16
	v_cvt_f64_f32_e32 v[10:11], v12
	v_add_nc_u32_e32 v12, 0xfffffc10, v17
	v_or_b32_e32 v13, v13, v18
	v_cndmask_b32_e32 v15, 0x7c00, v15, vcc_lo
	v_cmp_ne_u32_e32 vcc_lo, 0, v0
	v_lshl_or_b32 v17, v12, 12, v8
	v_lshrrev_b32_e32 v18, 8, v1
	v_cndmask_b32_e64 v0, 0, 1, vcc_lo
	v_cmp_ne_u32_e32 vcc_lo, 0, v2
	v_and_or_b32 v0, 0xffe, v18, v0
	v_cndmask_b32_e64 v2, 0, 1, vcc_lo
	v_cmp_gt_i32_e32 vcc_lo, 1, v12
	s_waitcnt lgkmcnt(0)
	v_lshrrev_b32_e32 v18, 16, v6
	v_or_b32_e32 v21, 0x1000, v0
	v_lshl_or_b32 v2, v2, 9, 0x7c00
	v_cndmask_b32_e32 v13, v17, v13, vcc_lo
	v_sub_nc_u32_e32 v17, 0x3f1, v19
	v_cmp_eq_u32_e32 vcc_lo, 0x40f, v16
	v_mul_f64 v[10:11], v[10:11], s[6:7]
	v_mul_f16_sdwa v22, v48, v18 dst_sel:DWORD dst_unused:UNUSED_PAD src0_sel:WORD_1 src1_sel:DWORD
	v_and_b32_e32 v20, 7, v13
	v_med3_i32 v17, v17, 0, 13
	v_cndmask_b32_e32 v2, v15, v2, vcc_lo
	v_add_nc_u32_e32 v19, 0xfffffc10, v19
	v_fmac_f16_e32 v22, v48, v6
	v_cmp_lt_i32_e32 vcc_lo, 5, v20
	v_lshrrev_b32_e32 v15, v17, v21
	v_cmp_eq_u32_e64 s0, 3, v20
	v_and_or_b32 v16, 0x8000, v3, v2
	v_lshrrev_b32_e32 v2, 2, v13
	v_cvt_f32_f16_e32 v13, v22
	v_lshlrev_b32_e32 v3, v17, v15
	s_or_b32 vcc_lo, s0, vcc_lo
	v_mul_f16_sdwa v6, v48, v6 dst_sel:DWORD dst_unused:UNUSED_PAD src0_sel:WORD_1 src1_sel:DWORD
	v_add_co_ci_u32_e32 v17, vcc_lo, 0, v2, vcc_lo
	v_cmp_ne_u32_e32 vcc_lo, v3, v21
	v_cvt_f64_f32_e32 v[2:3], v13
	v_fma_f16 v6, v48, v18, -v6
	v_and_or_b32 v10, 0x1ff, v11, v10
	v_cndmask_b32_e64 v20, 0, 1, vcc_lo
	v_cmp_ne_u32_e32 vcc_lo, 0, v8
	v_cvt_f32_f16_e32 v6, v6
	v_or_b32_e32 v13, v15, v20
	v_cndmask_b32_e64 v8, 0, 1, vcc_lo
	v_cmp_gt_i32_e32 vcc_lo, 31, v12
	v_lshl_or_b32 v15, v19, 12, v0
	v_bfe_u32 v20, v11, 20, 11
	v_lshl_or_b32 v8, v8, 9, 0x7c00
	v_cndmask_b32_e32 v17, 0x7c00, v17, vcc_lo
	v_cmp_gt_i32_e32 vcc_lo, 1, v19
	v_cndmask_b32_e32 v13, v15, v13, vcc_lo
	v_cmp_ne_u32_e32 vcc_lo, 0, v10
	v_lshrrev_b32_e32 v15, 8, v11
	v_mul_f64 v[2:3], v[2:3], s[6:7]
	v_and_b32_e32 v21, 7, v13
	v_cndmask_b32_e64 v10, 0, 1, vcc_lo
	v_cmp_eq_u32_e32 vcc_lo, 0x40f, v12
	v_sub_nc_u32_e32 v12, 0x3f1, v20
	v_cmp_eq_u32_e64 s0, 3, v21
	v_and_or_b32 v10, 0xffe, v15, v10
	v_cndmask_b32_e32 v8, v17, v8, vcc_lo
	v_cmp_lt_i32_e32 vcc_lo, 5, v21
	v_med3_i32 v12, v12, 0, 13
	v_or_b32_e32 v15, 0x1000, v10
	v_and_or_b32 v8, 0x8000, v9, v8
	v_lshrrev_b32_e32 v9, 2, v13
	s_or_b32 vcc_lo, s0, vcc_lo
	v_and_b32_e32 v13, 0xffff, v16
	v_lshrrev_b32_e32 v16, v12, v15
	v_add_co_ci_u32_e32 v9, vcc_lo, 0, v9, vcc_lo
	v_cmp_ne_u32_e32 vcc_lo, 0, v0
	v_lshl_or_b32 v17, v8, 16, v13
	v_lshlrev_b32_e32 v8, v12, v16
	v_and_or_b32 v2, 0x1ff, v3, v2
	v_bfe_u32 v18, v3, 20, 11
	v_cndmask_b32_e64 v0, 0, 1, vcc_lo
	v_cmp_gt_i32_e32 vcc_lo, 31, v19
	v_lshl_or_b32 v0, v0, 9, 0x7c00
	v_cndmask_b32_e32 v9, 0x7c00, v9, vcc_lo
	v_cmp_ne_u32_e32 vcc_lo, v8, v15
	v_add_nc_u32_e32 v15, 0xfffffc10, v20
	v_cndmask_b32_e64 v8, 0, 1, vcc_lo
	v_cmp_eq_u32_e32 vcc_lo, 0x40f, v19
	v_lshl_or_b32 v13, v15, 12, v10
	v_cndmask_b32_e32 v12, v9, v0, vcc_lo
	v_cmp_ne_u32_e32 vcc_lo, 0, v2
	v_or_b32_e32 v0, v16, v8
	v_lshrrev_b32_e32 v16, 8, v3
	v_cvt_f64_f32_e32 v[8:9], v6
	v_lshrrev_b32_e32 v3, 16, v3
	v_cndmask_b32_e64 v2, 0, 1, vcc_lo
	v_cmp_gt_i32_e32 vcc_lo, 1, v15
	v_and_or_b32 v2, 0xffe, v16, v2
	v_cndmask_b32_e32 v6, v13, v0, vcc_lo
	v_sub_nc_u32_e32 v0, 0x3f1, v18
	v_lshrrev_b32_e32 v16, 16, v7
	v_lshrrev_b32_e32 v13, 16, v1
	v_or_b32_e32 v20, 0x1000, v2
	v_and_b32_e32 v19, 7, v6
	v_med3_i32 v21, v0, 0, 13
	v_mul_f16_sdwa v22, v47, v16 dst_sel:DWORD dst_unused:UNUSED_PAD src0_sel:WORD_1 src1_sel:DWORD
	v_add_co_u32 v0, vcc_lo, v4, s3
	v_add_co_ci_u32_e32 v1, vcc_lo, s2, v5, vcc_lo
	v_lshrrev_b32_e32 v24, v21, v20
	v_cmp_lt_i32_e32 vcc_lo, 5, v19
	v_cmp_eq_u32_e64 s0, 3, v19
	v_fmac_f16_e32 v22, v47, v7
	v_lshrrev_b32_e32 v6, 2, v6
	v_lshlrev_b32_e32 v19, v21, v24
	v_and_or_b32 v23, 0x8000, v13, v12
	s_or_b32 vcc_lo, s0, vcc_lo
	v_cvt_f32_f16_e32 v12, v22
	v_add_co_ci_u32_e32 v6, vcc_lo, 0, v6, vcc_lo
	v_mul_f64 v[8:9], v[8:9], s[6:7]
	v_cmp_ne_u32_e32 vcc_lo, v19, v20
	v_cvt_f64_f32_e32 v[12:13], v12
	v_add_nc_u32_e32 v18, 0xfffffc10, v18
	v_mul_f16_sdwa v7, v47, v7 dst_sel:DWORD dst_unused:UNUSED_PAD src0_sel:WORD_1 src1_sel:DWORD
	v_cndmask_b32_e64 v19, 0, 1, vcc_lo
	v_cmp_ne_u32_e32 vcc_lo, 0, v10
	v_lshl_or_b32 v20, v18, 12, v2
	v_fma_f16 v7, v47, v16, -v7
	v_or_b32_e32 v19, v24, v19
	v_cndmask_b32_e64 v10, 0, 1, vcc_lo
	v_cmp_gt_i32_e32 vcc_lo, 31, v15
	v_cvt_f32_f16_e32 v7, v7
	v_lshl_or_b32 v10, v10, 9, 0x7c00
	v_cndmask_b32_e32 v6, 0x7c00, v6, vcc_lo
	v_cmp_gt_i32_e32 vcc_lo, 1, v18
	v_and_or_b32 v8, 0x1ff, v9, v8
	v_cndmask_b32_e32 v16, v20, v19, vcc_lo
	v_cmp_eq_u32_e32 vcc_lo, 0x40f, v15
	v_lshrrev_b32_e32 v19, 16, v11
	v_and_b32_e32 v20, 7, v16
	v_cndmask_b32_e32 v15, v6, v10, vcc_lo
	v_mul_f64 v[10:11], v[12:13], s[6:7]
	v_cvt_f64_f32_e32 v[6:7], v7
	v_cmp_ne_u32_e32 vcc_lo, 0, v8
	v_lshrrev_b32_e32 v12, 8, v9
	v_bfe_u32 v13, v9, 20, 11
	v_cmp_eq_u32_e64 s0, 3, v20
	v_lshrrev_b32_e32 v16, 2, v16
	v_cndmask_b32_e64 v8, 0, 1, vcc_lo
	v_cmp_lt_i32_e32 vcc_lo, 5, v20
	v_and_or_b32 v15, 0x8000, v19, v15
	v_and_b32_e32 v19, 0xffff, v23
	v_lshrrev_b32_e32 v9, 16, v9
	v_and_or_b32 v8, 0xffe, v12, v8
	v_sub_nc_u32_e32 v12, 0x3f1, v13
	s_or_b32 vcc_lo, s0, vcc_lo
	v_lshl_or_b32 v15, v15, 16, v19
	v_add_co_ci_u32_e32 v16, vcc_lo, 0, v16, vcc_lo
	v_or_b32_e32 v19, 0x1000, v8
	v_med3_i32 v12, v12, 0, 13
	v_cmp_ne_u32_e32 vcc_lo, 0, v2
	v_add_nc_u32_e32 v13, 0xfffffc10, v13
	v_and_or_b32 v10, 0x1ff, v11, v10
	v_mul_f64 v[6:7], v[6:7], s[6:7]
	v_lshrrev_b32_e32 v20, v12, v19
	v_cndmask_b32_e64 v2, 0, 1, vcc_lo
	v_cmp_gt_i32_e32 vcc_lo, 31, v18
	v_lshrrev_b32_e32 v21, 8, v11
	v_bfe_u32 v22, v11, 20, 11
	v_lshlrev_b32_e32 v12, v12, v20
	v_lshl_or_b32 v2, v2, 9, 0x7c00
	v_cndmask_b32_e32 v16, 0x7c00, v16, vcc_lo
	v_cmp_ne_u32_e32 vcc_lo, 0, v10
	v_lshrrev_b32_e32 v11, 16, v11
	v_cndmask_b32_e64 v10, 0, 1, vcc_lo
	v_cmp_ne_u32_e32 vcc_lo, v12, v19
	v_sub_nc_u32_e32 v19, 0x3f1, v22
	v_and_or_b32 v10, 0xffe, v21, v10
	v_cndmask_b32_e64 v12, 0, 1, vcc_lo
	v_cmp_eq_u32_e32 vcc_lo, 0x40f, v18
	v_med3_i32 v19, v19, 0, 13
	v_and_or_b32 v6, 0x1ff, v7, v6
	v_or_b32_e32 v18, 0x1000, v10
	v_or_b32_e32 v12, v20, v12
	v_cndmask_b32_e32 v2, v16, v2, vcc_lo
	v_lshl_or_b32 v16, v13, 12, v8
	v_cmp_gt_i32_e32 vcc_lo, 1, v13
	v_lshrrev_b32_e32 v20, 8, v7
	v_bfe_u32 v21, v7, 20, 11
	v_and_or_b32 v2, 0x8000, v3, v2
	v_lshrrev_b32_e32 v7, 16, v7
	v_cndmask_b32_e32 v12, v16, v12, vcc_lo
	v_lshrrev_b32_e32 v16, v19, v18
	v_cmp_ne_u32_e32 vcc_lo, 0, v6
	v_and_b32_e32 v23, 7, v12
	v_lshlrev_b32_e32 v19, v19, v16
	v_cndmask_b32_e64 v6, 0, 1, vcc_lo
	v_lshrrev_b32_e32 v12, 2, v12
	v_cmp_lt_i32_e32 vcc_lo, 5, v23
	v_cmp_ne_u32_e64 s0, v19, v18
	v_and_or_b32 v3, 0xffe, v20, v6
	v_sub_nc_u32_e32 v6, 0x3f1, v21
	v_add_nc_u32_e32 v20, 0xfffffc10, v22
	v_cndmask_b32_e64 v18, 0, 1, s0
	v_cmp_eq_u32_e64 s0, 3, v23
	v_or_b32_e32 v19, 0x1000, v3
	v_med3_i32 v6, v6, 0, 13
	v_lshl_or_b32 v22, v20, 12, v10
	v_or_b32_e32 v16, v16, v18
	s_or_b32 vcc_lo, s0, vcc_lo
	v_add_co_ci_u32_e32 v12, vcc_lo, 0, v12, vcc_lo
	v_lshrrev_b32_e32 v18, v6, v19
	v_cmp_gt_i32_e32 vcc_lo, 1, v20
	v_lshlrev_b32_e32 v6, v6, v18
	v_cndmask_b32_e32 v16, v22, v16, vcc_lo
	v_cmp_ne_u32_e32 vcc_lo, 0, v8
	v_cndmask_b32_e64 v8, 0, 1, vcc_lo
	v_cmp_ne_u32_e32 vcc_lo, v6, v19
	v_add_nc_u32_e32 v19, 0xfffffc10, v21
	v_and_b32_e32 v21, 7, v16
	v_lshl_or_b32 v8, v8, 9, 0x7c00
	v_cndmask_b32_e64 v6, 0, 1, vcc_lo
	v_cmp_gt_i32_e32 vcc_lo, 31, v13
	v_cmp_gt_i32_e64 s1, 1, v19
	v_cmp_eq_u32_e64 s0, 3, v21
	v_or_b32_e32 v6, v18, v6
	v_lshl_or_b32 v18, v19, 12, v3
	v_cndmask_b32_e32 v12, 0x7c00, v12, vcc_lo
	v_cmp_lt_i32_e32 vcc_lo, 5, v21
	v_cndmask_b32_e64 v6, v18, v6, s1
	v_cmp_eq_u32_e64 s1, 0x40f, v13
	s_or_b32 vcc_lo, s0, vcc_lo
	v_and_b32_e32 v13, 7, v6
	v_cndmask_b32_e64 v8, v12, v8, s1
	v_lshrrev_b32_e32 v12, 2, v16
	v_lshrrev_b32_e32 v6, 2, v6
	v_cmp_gt_i32_e64 s1, 31, v20
	v_cmp_eq_u32_e64 s0, 3, v13
	v_and_or_b32 v8, 0x8000, v9, v8
	v_add_co_ci_u32_e32 v12, vcc_lo, 0, v12, vcc_lo
	v_cmp_ne_u32_e32 vcc_lo, 0, v10
	v_and_b32_e32 v9, 0xffff, v2
	v_cndmask_b32_e64 v12, 0x7c00, v12, s1
	v_cndmask_b32_e64 v10, 0, 1, vcc_lo
	v_cmp_lt_i32_e32 vcc_lo, 5, v13
	v_lshl_or_b32 v10, v10, 9, 0x7c00
	s_or_b32 vcc_lo, s0, vcc_lo
	v_add_co_ci_u32_e32 v6, vcc_lo, 0, v6, vcc_lo
	v_cmp_ne_u32_e32 vcc_lo, 0, v3
	v_cndmask_b32_e64 v3, 0, 1, vcc_lo
	v_cmp_eq_u32_e32 vcc_lo, 0x40f, v20
	v_lshl_or_b32 v3, v3, 9, 0x7c00
	v_cndmask_b32_e32 v10, v12, v10, vcc_lo
	v_cmp_gt_i32_e32 vcc_lo, 31, v19
	v_and_or_b32 v10, 0x8000, v11, v10
	v_cndmask_b32_e32 v6, 0x7c00, v6, vcc_lo
	v_cmp_eq_u32_e32 vcc_lo, 0x40f, v19
	v_lshl_or_b32 v11, v8, 16, v9
	v_and_b32_e32 v9, 0xffff, v10
	v_cndmask_b32_e32 v6, v6, v3, vcc_lo
	v_add_co_u32 v2, vcc_lo, v0, s3
	v_add_co_ci_u32_e32 v3, vcc_lo, s2, v1, vcc_lo
	v_and_or_b32 v8, 0x8000, v7, v6
	v_add_co_u32 v6, vcc_lo, v2, s3
	v_add_co_ci_u32_e32 v7, vcc_lo, s2, v3, vcc_lo
	v_lshl_or_b32 v10, v8, 16, v9
	v_add_co_u32 v8, vcc_lo, v6, s3
	v_add_co_ci_u32_e32 v9, vcc_lo, s2, v7, vcc_lo
	global_store_dword v[4:5], v14, off
	global_store_dword v[0:1], v17, off
	;; [unrolled: 1-line block ×5, first 2 shown]
.LBB0_18:
	s_endpgm
	.section	.rodata,"a",@progbits
	.p2align	6, 0x0
	.amdhsa_kernel bluestein_single_back_len884_dim1_half_op_CI_CI
		.amdhsa_group_segment_fixed_size 10608
		.amdhsa_private_segment_fixed_size 0
		.amdhsa_kernarg_size 104
		.amdhsa_user_sgpr_count 6
		.amdhsa_user_sgpr_private_segment_buffer 1
		.amdhsa_user_sgpr_dispatch_ptr 0
		.amdhsa_user_sgpr_queue_ptr 0
		.amdhsa_user_sgpr_kernarg_segment_ptr 1
		.amdhsa_user_sgpr_dispatch_id 0
		.amdhsa_user_sgpr_flat_scratch_init 0
		.amdhsa_user_sgpr_private_segment_size 0
		.amdhsa_wavefront_size32 1
		.amdhsa_uses_dynamic_stack 0
		.amdhsa_system_sgpr_private_segment_wavefront_offset 0
		.amdhsa_system_sgpr_workgroup_id_x 1
		.amdhsa_system_sgpr_workgroup_id_y 0
		.amdhsa_system_sgpr_workgroup_id_z 0
		.amdhsa_system_sgpr_workgroup_info 0
		.amdhsa_system_vgpr_workitem_id 0
		.amdhsa_next_free_vgpr 255
		.amdhsa_next_free_sgpr 20
		.amdhsa_reserve_vcc 1
		.amdhsa_reserve_flat_scratch 0
		.amdhsa_float_round_mode_32 0
		.amdhsa_float_round_mode_16_64 0
		.amdhsa_float_denorm_mode_32 3
		.amdhsa_float_denorm_mode_16_64 3
		.amdhsa_dx10_clamp 1
		.amdhsa_ieee_mode 1
		.amdhsa_fp16_overflow 0
		.amdhsa_workgroup_processor_mode 1
		.amdhsa_memory_ordered 1
		.amdhsa_forward_progress 0
		.amdhsa_shared_vgpr_count 0
		.amdhsa_exception_fp_ieee_invalid_op 0
		.amdhsa_exception_fp_denorm_src 0
		.amdhsa_exception_fp_ieee_div_zero 0
		.amdhsa_exception_fp_ieee_overflow 0
		.amdhsa_exception_fp_ieee_underflow 0
		.amdhsa_exception_fp_ieee_inexact 0
		.amdhsa_exception_int_div_zero 0
	.end_amdhsa_kernel
	.text
.Lfunc_end0:
	.size	bluestein_single_back_len884_dim1_half_op_CI_CI, .Lfunc_end0-bluestein_single_back_len884_dim1_half_op_CI_CI
                                        ; -- End function
	.section	.AMDGPU.csdata,"",@progbits
; Kernel info:
; codeLenInByte = 30092
; NumSgprs: 22
; NumVgprs: 255
; ScratchSize: 0
; MemoryBound: 0
; FloatMode: 240
; IeeeMode: 1
; LDSByteSize: 10608 bytes/workgroup (compile time only)
; SGPRBlocks: 2
; VGPRBlocks: 31
; NumSGPRsForWavesPerEU: 22
; NumVGPRsForWavesPerEU: 255
; Occupancy: 4
; WaveLimiterHint : 1
; COMPUTE_PGM_RSRC2:SCRATCH_EN: 0
; COMPUTE_PGM_RSRC2:USER_SGPR: 6
; COMPUTE_PGM_RSRC2:TRAP_HANDLER: 0
; COMPUTE_PGM_RSRC2:TGID_X_EN: 1
; COMPUTE_PGM_RSRC2:TGID_Y_EN: 0
; COMPUTE_PGM_RSRC2:TGID_Z_EN: 0
; COMPUTE_PGM_RSRC2:TIDIG_COMP_CNT: 0
	.text
	.p2alignl 6, 3214868480
	.fill 48, 4, 3214868480
	.type	__hip_cuid_cf80642403dbd8f3,@object ; @__hip_cuid_cf80642403dbd8f3
	.section	.bss,"aw",@nobits
	.globl	__hip_cuid_cf80642403dbd8f3
__hip_cuid_cf80642403dbd8f3:
	.byte	0                               ; 0x0
	.size	__hip_cuid_cf80642403dbd8f3, 1

	.ident	"AMD clang version 19.0.0git (https://github.com/RadeonOpenCompute/llvm-project roc-6.4.0 25133 c7fe45cf4b819c5991fe208aaa96edf142730f1d)"
	.section	".note.GNU-stack","",@progbits
	.addrsig
	.addrsig_sym __hip_cuid_cf80642403dbd8f3
	.amdgpu_metadata
---
amdhsa.kernels:
  - .args:
      - .actual_access:  read_only
        .address_space:  global
        .offset:         0
        .size:           8
        .value_kind:     global_buffer
      - .actual_access:  read_only
        .address_space:  global
        .offset:         8
        .size:           8
        .value_kind:     global_buffer
      - .actual_access:  read_only
        .address_space:  global
        .offset:         16
        .size:           8
        .value_kind:     global_buffer
      - .actual_access:  read_only
        .address_space:  global
        .offset:         24
        .size:           8
        .value_kind:     global_buffer
      - .actual_access:  read_only
        .address_space:  global
        .offset:         32
        .size:           8
        .value_kind:     global_buffer
      - .offset:         40
        .size:           8
        .value_kind:     by_value
      - .address_space:  global
        .offset:         48
        .size:           8
        .value_kind:     global_buffer
      - .address_space:  global
        .offset:         56
        .size:           8
        .value_kind:     global_buffer
      - .address_space:  global
        .offset:         64
        .size:           8
        .value_kind:     global_buffer
      - .address_space:  global
        .offset:         72
        .size:           8
        .value_kind:     global_buffer
      - .offset:         80
        .size:           4
        .value_kind:     by_value
      - .address_space:  global
        .offset:         88
        .size:           8
        .value_kind:     global_buffer
      - .address_space:  global
        .offset:         96
        .size:           8
        .value_kind:     global_buffer
    .group_segment_fixed_size: 10608
    .kernarg_segment_align: 8
    .kernarg_segment_size: 104
    .language:       OpenCL C
    .language_version:
      - 2
      - 0
    .max_flat_workgroup_size: 204
    .name:           bluestein_single_back_len884_dim1_half_op_CI_CI
    .private_segment_fixed_size: 0
    .sgpr_count:     22
    .sgpr_spill_count: 0
    .symbol:         bluestein_single_back_len884_dim1_half_op_CI_CI.kd
    .uniform_work_group_size: 1
    .uses_dynamic_stack: false
    .vgpr_count:     255
    .vgpr_spill_count: 0
    .wavefront_size: 32
    .workgroup_processor_mode: 1
amdhsa.target:   amdgcn-amd-amdhsa--gfx1030
amdhsa.version:
  - 1
  - 2
...

	.end_amdgpu_metadata
